;; amdgpu-corpus repo=ROCm/aiter kind=harvested arch=n/a opt=n/a

/root/src/amdgpu-assembly/repos/ROCm__aiter/hsa/gfx950/fmha_v3_bwd/bwd_hd192_bf16_causal_a32_rtne_psskddv_group.co:	file format elf64-amdgpu

Disassembly of section .text:

0000000000004000 <_ZN5aiter59fmha_bwd_hd192_bf16_causal_a32_rtne_psskddv_group_recompileE>:
	s_and_b32 s1, s1, 0xffff                                   // 000000004000: 8601FF01 0000FFFF
	s_load_dwordx2 s[32:33], s[0:1], 0x0                       // 000000004008: C0060800 00000000
	s_load_dwordx2 s[36:37], s[0:1], 0x10                      // 000000004010: C0060900 00000010
	s_load_dwordx2 s[40:41], s[0:1], 0x20                      // 000000004018: C0060A00 00000020
	s_load_dwordx2 s[8:9], s[0:1], 0x30                        // 000000004020: C0060200 00000030
	s_load_dwordx2 s[12:13], s[0:1], 0x40                      // 000000004028: C0060300 00000040
	s_load_dwordx2 s[16:17], s[0:1], 0x50                      // 000000004030: C0060400 00000050
	s_load_dwordx2 s[20:21], s[0:1], 0x60                      // 000000004038: C0060500 00000060
	s_load_dwordx2 s[24:25], s[0:1], 0x70                      // 000000004040: C0060600 00000070
	s_load_dwordx2 s[28:29], s[0:1], 0x80                      // 000000004048: C0060700 00000080
	s_load_dword s47, s[0:1], 0x90                             // 000000004050: C0020BC0 00000090
	s_load_dword s48, s[0:1], 0xa0                             // 000000004058: C0020C00 000000A0
	s_load_dword s78, s[0:1], 0xd0                             // 000000004060: C0021380 000000D0
	s_load_dword s5, s[0:1], 0xf0                              // 000000004068: C0020140 000000F0
	s_load_dword s44, s[0:1], 0x100                            // 000000004070: C0020B00 00000100
	s_load_dword s79, s[0:1], 0x110                            // 000000004078: C00213C0 00000110
	s_load_dword s6, s[0:1], 0x130                             // 000000004080: C0020180 00000130
	s_load_dword s52, s[0:1], 0x140                            // 000000004088: C0020D00 00000140
	s_load_dword s50, s[0:1], 0x160                            // 000000004090: C0020C80 00000160
	s_load_dword s80, s[0:1], 0x190                            // 000000004098: C0021400 00000190
	s_load_dword s7, s[0:1], 0x1b0                             // 0000000040A0: C00201C0 000001B0
	s_load_dword s81, s[0:1], 0x1c0                            // 0000000040A8: C0021440 000001C0
	s_load_dword s51, s[0:1], 0x1e0                            // 0000000040B0: C0020CC0 000001E0
	s_load_dword s82, s[0:1], 0x1f0                            // 0000000040B8: C0021480 000001F0
	s_load_dword s83, s[0:1], 0x210                            // 0000000040C0: C00214C0 00000210
	s_load_dword s53, s[0:1], 0x230                            // 0000000040C8: C0020D40 00000230
	s_load_dword s49, s[0:1], 0x240                            // 0000000040D0: C0020C40 00000240
	s_load_dwordx2 s[88:89], s[0:1], 0x250                     // 0000000040D8: C0061600 00000250
	s_load_dwordx2 s[92:93], s[0:1], 0x260                     // 0000000040E0: C0061700 00000260
	s_load_dwordx2 s[96:97], s[0:1], 0x270                     // 0000000040E8: C0061800 00000270
	s_load_dwordx2 s[100:101], s[0:1], 0x280                   // 0000000040F0: C0061900 00000280
	v_lshrrev_b32_e32 v1, 10, v0                               // 0000000040F8: 2002008A
	v_lshrrev_b32_e32 v2, 10, v1                               // 0000000040FC: 2004028A
	v_and_b32_e32 v2, 0x3ff, v2                                // 000000004100: 260404FF 000003FF
	v_and_b32_e32 v1, 0x3ff, v1                                // 000000004108: 260202FF 000003FF
	v_and_b32_e32 v0, 0x3ff, v0                                // 000000004110: 260000FF 000003FF
	v_lshrrev_b32_e32 v3, 6, v0                                // 000000004118: 20060086
	v_and_b32_e32 v0, 63, v0                                   // 00000000411C: 260000BF
	s_mov_b32 s2, s2                                           // 000000004120: BE820002
	s_mov_b32 s3, s3                                           // 000000004124: BE830003
	s_mov_b32 s4, s4                                           // 000000004128: BE840004
	v_readfirstlane_b32 s46, v3                                // 00000000412C: 7E5C0503
	s_waitcnt lgkmcnt(0)                                       // 000000004130: BF8CC07F
	s_mul_i32 s60, s4, 4                                       // 000000004134: 923C8404
	s_add_u32 s88, s60, s88                                    // 000000004138: 8058583C
	s_addc_u32 s89, 0, s89                                     // 00000000413C: 82595980
	s_load_dwordx2 s[84:85], s[88:89], 0x0                     // 000000004140: C006152C 00000000
	s_add_u32 s96, s60, s96                                    // 000000004148: 8060603C
	s_addc_u32 s97, 0, s97                                     // 00000000414C: 82616180
	s_load_dword s90, s[96:97], 0x0                            // 000000004150: C00216B0 00000000
	s_add_u32 s92, s60, s92                                    // 000000004158: 805C5C3C
	s_addc_u32 s93, 0, s93                                     // 00000000415C: 825D5D80
	s_load_dwordx2 s[86:87], s[92:93], 0x0                     // 000000004160: C00615AE 00000000
	s_add_u32 s100, s60, s100                                  // 000000004168: 8064643C
	s_addc_u32 s101, 0, s101                                   // 00000000416C: 82656580
	s_load_dword s91, s[100:101], 0x0                          // 000000004170: C00216F2 00000000
	s_mov_b32 s11, 0x20000                                     // 000000004178: BE8B00FF 00020000
	s_mov_b32 s15, 0x20000                                     // 000000004180: BE8F00FF 00020000
	s_mov_b32 s19, 0x20000                                     // 000000004188: BE9300FF 00020000
	s_mov_b32 s23, 0x20000                                     // 000000004190: BE9700FF 00020000
	s_mov_b32 s27, 0x20000                                     // 000000004198: BE9B00FF 00020000
	s_mov_b32 s31, 0x20000                                     // 0000000041A0: BE9F00FF 00020000
	s_mov_b32 s35, 0x20000                                     // 0000000041A8: BEA300FF 00020000
	s_mov_b32 s39, 0x20000                                     // 0000000041B0: BEA700FF 00020000
	s_mov_b32 s43, 0x20000                                     // 0000000041B8: BEAB00FF 00020000
	s_and_b32 s9, s9, 0xffff                                   // 0000000041C0: 8609FF09 0000FFFF
	s_and_b32 s13, s13, 0xffff                                 // 0000000041C8: 860DFF0D 0000FFFF
	s_and_b32 s17, s17, 0xffff                                 // 0000000041D0: 8611FF11 0000FFFF
	s_and_b32 s21, s21, 0xffff                                 // 0000000041D8: 8615FF15 0000FFFF
	s_and_b32 s25, s25, 0xffff                                 // 0000000041E0: 8619FF19 0000FFFF
	s_and_b32 s29, s29, 0xffff                                 // 0000000041E8: 861DFF1D 0000FFFF
	s_and_b32 s33, s33, 0xffff                                 // 0000000041F0: 8621FF21 0000FFFF
	s_and_b32 s37, s37, 0xffff                                 // 0000000041F8: 8625FF25 0000FFFF
	s_and_b32 s41, s41, 0xffff                                 // 000000004200: 8629FF29 0000FFFF
	s_or_b32 s9, s9, 0x40000                                   // 000000004208: 8709FF09 00040000
	s_or_b32 s13, s13, 0x40000                                 // 000000004210: 870DFF0D 00040000
	s_or_b32 s17, s17, 0x40000                                 // 000000004218: 8711FF11 00040000
	s_or_b32 s21, s21, 0x40000                                 // 000000004220: 8715FF15 00040000
	s_or_b32 s25, s25, 0x40000                                 // 000000004228: 8719FF19 00040000
	s_or_b32 s29, s29, 0x40000                                 // 000000004230: 871DFF1D 00040000
	s_or_b32 s33, s33, 0x40000                                 // 000000004238: 8721FF21 00040000
	s_or_b32 s37, s37, 0x40000                                 // 000000004240: 8725FF25 00040000
	s_or_b32 s41, s41, 0x40000                                 // 000000004248: 8729FF29 00040000
	v_accvgpr_write_b32 a143, 0                                // 000000004250: D3D9408F 18000080
	v_mov_b32_e32 v213, 0                                      // 000000004258: 7FAA0280
	s_mov_b32 s71, s3                                          // 00000000425C: BEC70003
	v_cvt_f32_u32_e32 v28, s44                                 // 000000004260: 7E380C2C
	s_sub_i32 s60, 0, s44                                      // 000000004264: 81BC2C80
	v_rcp_iflag_f32_e32 v28, v28                               // 000000004268: 7E38471C
	s_nop 0                                                    // 00000000426C: BF800000
	v_mul_f32_e32 v28, 0x4f7ffffe, v28                         // 000000004270: 0A3838FF 4F7FFFFE
	v_cvt_u32_f32_e32 v28, v28                                 // 000000004278: 7E380F1C
	v_mul_lo_u32 v29, s60, v28                                 // 00000000427C: D285001D 0002383C
	v_mul_hi_u32 v29, v28, v29                                 // 000000004284: D286001D 00023B1C
	v_add_u32_e32 v28, v28, v29                                // 00000000428C: 68383B1C
	v_mul_hi_u32 v28, s71, v28                                 // 000000004290: D286001C 00023847
	v_mul_lo_u32 v29, v28, s44                                 // 000000004298: D285001D 0000591C
	v_sub_u32_e32 v31, s71, v29                                // 0000000042A0: 6A3E3A47
	v_add_u32_e32 v30, 1, v28                                  // 0000000042A4: 683C3881
	v_cmp_le_u32_e32 vcc, s44, v31                             // 0000000042A8: 7D963E2C
	v_subrev_u32_e32 v29, s44, v31                             // 0000000042AC: 6C3A3E2C
	s_nop 0                                                    // 0000000042B0: BF800000
	v_cndmask_b32_e32 v28, v28, v30, vcc                       // 0000000042B4: 00383D1C
	v_cndmask_b32_e32 v31, v31, v29, vcc                       // 0000000042B8: 003E3B1F
	v_add_u32_e32 v29, 1, v28                                  // 0000000042BC: 683A3881
	v_cmp_le_u32_e32 vcc, s44, v31                             // 0000000042C0: 7D963E2C
	s_nop 1                                                    // 0000000042C4: BF800001
	v_cndmask_b32_e32 v31, v28, v29, vcc                       // 0000000042C8: 003E3B1C
	s_nop 3                                                    // 0000000042CC: BF800003
	v_readfirstlane_b32 s72, v31                               // 0000000042D0: 7E90051F
	s_nop 3                                                    // 0000000042D4: BF800003
	s_waitcnt lgkmcnt(0)                                       // 0000000042D8: BF8CC07F
	s_mul_i32 s61, s2, 0x80                                    // 0000000042DC: 923DFF02 00000080
	s_sub_i32 s87, s87, s86                                    // 0000000042E4: 81D75657
	s_mov_b32 s86, s91                                         // 0000000042E8: BED6005B
	s_sub_i32 s85, s85, s84                                    // 0000000042EC: 81D55455
	s_mov_b32 s84, s90                                         // 0000000042F0: BED4005A
	s_cmp_gt_i32 s85, 0                                        // 0000000042F4: BF028055
	s_cbranch_scc0 label_14AB                                  // 0000000042F8: BF8413EC
	s_mov_b32 s59, 0                                           // 0000000042FC: BEBB0080
	s_mov_b32 s58, s85                                         // 000000004300: BEBA0055
	s_cmp_ge_i32 s61, s87                                      // 000000004304: BF03573D
	s_cbranch_scc1 label_14AB                                  // 000000004308: BF8513E8
	s_mul_i32 s61, s72, s79                                    // 00000000430C: 923D4F48
	s_mov_b32 s54, s61                                         // 000000004310: BEB6003D
	s_add_u32 s12, s54, s12                                    // 000000004314: 800C0C36
	s_addc_u32 s13, 0, s13                                     // 000000004318: 820D0D80
	s_mul_i32 s60, s86, s6                                     // 00000000431C: 923C0656
	s_mul_hi_u32 s61, s86, s6                                  // 000000004320: 963D0656
	s_and_b32 s61, s61, 0xffff                                 // 000000004324: 863DFF3D 0000FFFF
	s_add_u32 s12, s12, s60                                    // 00000000432C: 800C3C0C
	s_addc_u32 s13, s13, s61                                   // 000000004330: 820D3D0D
	s_mul_i32 s61, s72, s80                                    // 000000004334: 923D5048
	s_mov_b32 s54, s61                                         // 000000004338: BEB6003D
	s_add_u32 s16, s54, s16                                    // 00000000433C: 80101036
	s_addc_u32 s17, 0, s17                                     // 000000004340: 82111180
	s_mul_i32 s60, s86, s7                                     // 000000004344: 923C0756
	s_mul_hi_u32 s61, s86, s7                                  // 000000004348: 963D0756
	s_and_b32 s61, s61, 0xffff                                 // 00000000434C: 863DFF3D 0000FFFF
	s_add_u32 s16, s16, s60                                    // 000000004354: 80103C10
	s_addc_u32 s17, s17, s61                                   // 000000004358: 82113D11
	s_mul_i32 s61, s3, s78                                     // 00000000435C: 923D4E03
	s_mov_b32 s55, s61                                         // 000000004360: BEB7003D
	s_add_u32 s8, s55, s8                                      // 000000004364: 80080837
	s_addc_u32 s9, 0, s9                                       // 000000004368: 82090980
	s_mul_i32 s60, s84, s5                                     // 00000000436C: 923C0554
	s_mul_hi_u32 s61, s84, s5                                  // 000000004370: 963D0554
	s_and_b32 s61, s61, 0xffff                                 // 000000004374: 863DFF3D 0000FFFF
	s_add_u32 s8, s8, s60                                      // 00000000437C: 80083C08
	s_addc_u32 s9, s9, s61                                     // 000000004380: 82093D09
	s_mul_i32 s61, s3, s81                                     // 000000004384: 923D5103
	s_mov_b32 s56, s61                                         // 000000004388: BEB8003D
	s_add_u32 s20, s56, s20                                    // 00000000438C: 80141438
	s_addc_u32 s21, 0, s21                                     // 000000004390: 82151580
	s_mul_i32 s60, s84, s51                                    // 000000004394: 923C3354
	s_mul_hi_u32 s61, s84, s51                                 // 000000004398: 963D3354
	s_and_b32 s61, s61, 0xffff                                 // 00000000439C: 863DFF3D 0000FFFF
	s_add_u32 s20, s20, s60                                    // 0000000043A4: 80143C14
	s_addc_u32 s21, s21, s61                                   // 0000000043A8: 82153D15
	s_mul_i32 s62, 4, s84                                      // 0000000043AC: 923E5484
	s_mul_i32 s61, s3, s49                                     // 0000000043B0: 923D3103
	s_add_u32 s65, s61, s62                                    // 0000000043B4: 80413E3D
	s_mov_b32 s26, s85                                         // 0000000043B8: BE9A0055
	s_mov_b32 s30, s85                                         // 0000000043BC: BE9E0055
	s_add_u32 s24, s65, s24                                    // 0000000043C0: 80181841
	s_addc_u32 s25, 0, s25                                     // 0000000043C4: 82191980
	s_add_u32 s28, s65, s28                                    // 0000000043C8: 801C1C41
	s_addc_u32 s29, 0, s29                                     // 0000000043CC: 821D1D80
	s_mul_i32 s61, s3, s82                                     // 0000000043D0: 923D5203
	s_mul_i32 s62, s86, s52                                    // 0000000043D4: 923E3456
	s_add_u32 s60, s61, s62                                    // 0000000043D8: 803C3E3D
	s_mul_hi_u32 s61, s86, s52                                 // 0000000043DC: 963D3456
	s_and_b32 s61, s61, 0xffff                                 // 0000000043E0: 863DFF3D 0000FFFF
	s_add_u32 s36, s60, s36                                    // 0000000043E8: 8024243C
	s_addc_u32 s37, s61, s37                                   // 0000000043EC: 8225253D
	s_mul_i32 s60, s87, s52                                    // 0000000043F0: 923C3457
	s_lshr_b32 s60, s60, 2                                     // 0000000043F4: 8F3C823C
	s_mov_b32 s38, s60                                         // 0000000043F8: BEA6003C
	s_mul_i32 s61, s3, s83                                     // 0000000043FC: 923D5303
	s_mul_i32 s62, s86, s53                                    // 000000004400: 923E3556
	s_add_u32 s60, s61, s62                                    // 000000004404: 803C3E3D
	s_mul_hi_u32 s61, s86, s53                                 // 000000004408: 963D3556
	s_and_b32 s61, s61, 0xffff                                 // 00000000440C: 863DFF3D 0000FFFF
	s_add_u32 s40, s60, s40                                    // 000000004414: 8028283C
	s_addc_u32 s41, s61, s41                                   // 000000004418: 8229293D
	s_mul_i32 s60, s87, s53                                    // 00000000441C: 923C3557
	s_lshr_b32 s60, s60, 2                                     // 000000004420: 8F3C823C
	s_mov_b32 s42, s60                                         // 000000004424: BEAA003C
	s_mul_i32 s60, s50, s65                                    // 000000004428: 923C4132
	s_mul_hi_u32 s62, s50, s65                                 // 00000000442C: 963E4132
	s_and_b32 s62, s62, 0xffff                                 // 000000004430: 863EFF3E 0000FFFF
	s_add_u32 s32, s60, s32                                    // 000000004438: 8020203C
	s_addc_u32 s33, s62, s33                                   // 00000000443C: 8221213E
	s_mul_i32 s60, s50, s85                                    // 000000004440: 923C5532
	s_lshl_b32 s60, s60, 2                                     // 000000004444: 8E3C823C
	s_mov_b32 s34, s60                                         // 000000004448: BEA2003C
	s_mov_b32 s90, s8                                          // 00000000444C: BEDA0008
	s_mov_b32 s94, s12                                         // 000000004450: BEDE000C
	s_mov_b32 s96, s16                                         // 000000004454: BEE00010
	s_mov_b32 s98, s20                                         // 000000004458: BEE20014
	s_mov_b32 s91, s9                                          // 00000000445C: BEDB0009
	s_mov_b32 s95, s13                                         // 000000004460: BEDF000D
	s_mov_b32 s97, s17                                         // 000000004464: BEE10011
	s_mov_b32 s99, s21                                         // 000000004468: BEE30015
	s_add_u32 s71, 63, s87                                     // 00000000446C: 804757BF
	s_mov_b32 s74, 64                                          // 000000004470: BECA00C0
	v_cvt_f32_u32_e32 v28, s74                                 // 000000004474: 7E380C4A
	s_sub_i32 s60, 0, s74                                      // 000000004478: 81BC4A80
	v_rcp_iflag_f32_e32 v28, v28                               // 00000000447C: 7E38471C
	s_nop 0                                                    // 000000004480: BF800000
	v_mul_f32_e32 v28, 0x4f7ffffe, v28                         // 000000004484: 0A3838FF 4F7FFFFE
	v_cvt_u32_f32_e32 v28, v28                                 // 00000000448C: 7E380F1C
	v_mul_lo_u32 v29, s60, v28                                 // 000000004490: D285001D 0002383C
	v_mul_hi_u32 v29, v28, v29                                 // 000000004498: D286001D 00023B1C
	v_add_u32_e32 v28, v28, v29                                // 0000000044A0: 68383B1C
	v_mul_hi_u32 v28, s71, v28                                 // 0000000044A4: D286001C 00023847
	v_mul_lo_u32 v29, v28, s74                                 // 0000000044AC: D285001D 0000951C
	v_sub_u32_e32 v31, s71, v29                                // 0000000044B4: 6A3E3A47
	v_add_u32_e32 v30, 1, v28                                  // 0000000044B8: 683C3881
	v_cmp_le_u32_e32 vcc, s74, v31                             // 0000000044BC: 7D963E4A
	v_subrev_u32_e32 v29, s74, v31                             // 0000000044C0: 6C3A3E4A
	s_nop 0                                                    // 0000000044C4: BF800000
	v_cndmask_b32_e32 v28, v28, v30, vcc                       // 0000000044C8: 00383D1C
	v_cndmask_b32_e32 v31, v31, v29, vcc                       // 0000000044CC: 003E3B1F
	v_add_u32_e32 v29, 1, v28                                  // 0000000044D0: 683A3881
	v_cmp_le_u32_e32 vcc, s74, v31                             // 0000000044D4: 7D963E4A
	s_nop 1                                                    // 0000000044D8: BF800001
	v_cndmask_b32_e32 v31, v28, v29, vcc                       // 0000000044DC: 003E3B1C
	s_nop 3                                                    // 0000000044E0: BF800003
	v_readfirstlane_b32 s77, v31                               // 0000000044E4: 7E9A051F
	s_nop 3                                                    // 0000000044E8: BF800003
	v_mov_b32_e32 v28, s47                                     // 0000000044EC: 7E38022F
	v_mul_f32_e32 v28, s48, v28                                // 0000000044F0: 0A383830
	s_mov_b32 s75, 0                                           // 0000000044F4: BECB0080
	s_mov_b32 s76, 1                                           // 0000000044F8: BECC0081
	s_mov_b32 s63, 0x5040100                                   // 0000000044FC: BEBF00FF 05040100
	s_mov_b32 s64, 0x7060302                                   // 000000004504: BEC000FF 07060302
	v_readfirstlane_b32 s57, v28                               // 00000000450C: 7E72051C
	v_mov_b32_e32 v30, 0x3020706                               // 000000004510: 7E3C02FF 03020706
	v_mov_b32_e32 v28, s63                                     // 000000004518: 7E38023F
	v_and_b32_e32 v29, 1, v0                                   // 00000000451C: 263A0081
	v_cmp_eq_u32_e32 vcc, 1, v29                               // 000000004520: 7D943A81
	s_mul_i32 s60, s50, 64                                     // 000000004524: 923CC032
	s_mov_b32 s67, s60                                         // 000000004528: BEC3003C
	v_cndmask_b32_e32 v15, v28, v30, vcc                       // 00000000452C: 001E3D1C
	v_mov_b32_e32 v209, 0xffff0000                             // 000000004530: 7FA202FF FFFF0000
	v_mov_b32_e32 v210, 0x7fff0000                             // 000000004538: 7FA402FF 7FFF0000
	v_mov_b32_e32 v211, 0x7fff                                 // 000000004540: 7FA602FF 00007FFF
	s_cmp_lt_u32 s46, 2                                        // 000000004548: BF0A822E
	s_cselect_b32 s24, s24, s28                                // 00000000454C: 85181C18
	s_cselect_b32 s25, s25, s29                                // 000000004550: 85191D19
	s_cselect_b32 s26, s26, s30                                // 000000004554: 851A1E1A
	s_cselect_b32 s27, s27, s31                                // 000000004558: 851B1F1B
	s_lshr_b32 s60, s46, 1                                     // 00000000455C: 8F3C812E
	s_lshl_b32 s60, s60, 8                                     // 000000004560: 8E3C883C
	s_add_u32 s80, 0x9f00, s60                                 // 000000004564: 80503CFF 00009F00
	s_add_u32 s81, 0x200, s80                                  // 00000000456C: 805150FF 00000200
	s_lshl_b32 s60, s2, 1                                      // 000000004574: 8E3C8102
	s_add_u32 s60, 1, s60                                      // 000000004578: 803C3C81
	s_cmp_ge_i32 s60, s77                                      // 00000000457C: BF034D3C
	s_cselect_b32 s76, s76, 2                                  // 000000004580: 854C824C

0000000000004584 <label_0161>:
	s_mov_b32 m0, s80                                          // 000000004584: BEFC0050
	s_mov_b32 s66, 0                                           // 000000004588: BEC20080
	v_mov_b32_e32 v159, 0xff800000                             // 00000000458C: 7F3E02FF FF800000
	s_mov_b32 s74, 0                                           // 000000004594: BECA0080
	s_mul_i32 s68, 4, s5                                       // 000000004598: 92440584
	s_mul_i32 s100, 4, s51                                     // 00000000459C: 92643384
	s_mov_b32 s69, 16                                          // 0000000045A0: BEC50090
	s_mul_i32 s59, 64, s2                                      // 0000000045A4: 923B02C0
	s_mul_i32 s54, s6, s59                                     // 0000000045A8: 92363B06
	s_sub_i32 s61, s87, s59                                    // 0000000045AC: 81BD3B57
	s_mul_i32 s62, s6, s61                                     // 0000000045B0: 923E3D06
	s_lshr_b32 s62, s62, 2                                     // 0000000045B4: 8F3E823E
	s_mov_b32 s14, s62                                         // 0000000045B8: BE8E003E
	s_add_u32 s12, s54, s94                                    // 0000000045BC: 800C5E36
	s_addc_u32 s13, 0, s95                                     // 0000000045C0: 820D5F80
	s_mul_i32 s54, s7, s59                                     // 0000000045C4: 92363B07
	s_mul_i32 s62, s7, s61                                     // 0000000045C8: 923E3D07
	s_lshr_b32 s62, s62, 2                                     // 0000000045CC: 8F3E823E
	s_mov_b32 s18, s62                                         // 0000000045D0: BE92003E
	s_add_u32 s16, s54, s96                                    // 0000000045D4: 80106036
	s_addc_u32 s17, 0, s97                                     // 0000000045D8: 82116180
	s_mov_b32 s71, s6                                          // 0000000045DC: BEC70006
	v_lshrrev_b32_e32 v28, 4, v0                               // 0000000045E0: 20380084
	v_and_b32_e32 v29, 1, v28                                  // 0000000045E4: 263A3881
	v_lshlrev_b32_e32 v29, 1, v29                              // 0000000045E8: 243A3A81
	v_mul_i32_i24_e32 v29, s71, v29                            // 0000000045EC: 0C3A3A47
	v_and_b32_e32 v30, 2, v28                                  // 0000000045F0: 263C3882
	v_lshlrev_b32_e32 v30, 5, v30                              // 0000000045F4: 243C3C85
	v_add_u32_e32 v29, v30, v29                                // 0000000045F8: 683A3B1E
	v_and_b32_e32 v28, 15, v0                                  // 0000000045FC: 2638008F
	v_lshlrev_b32_e32 v28, 2, v28                              // 000000004600: 24383882
	v_add_u32_e32 v1, v28, v29                                 // 000000004604: 68023B1C
	s_mul_i32 s60, s46, s71                                    // 000000004608: 923C472E
	s_mul_i32 s60, s60, 4                                      // 00000000460C: 923C843C
	v_add_u32_e32 v1, s60, v1                                  // 000000004610: 6802023C
	v_add_u32_e32 v2, s71, v1                                  // 000000004614: 68040247
	s_mov_b32 s71, s7                                          // 000000004618: BEC70007
	v_lshrrev_b32_e32 v28, 4, v0                               // 00000000461C: 20380084
	v_and_b32_e32 v29, 1, v28                                  // 000000004620: 263A3881
	v_lshlrev_b32_e32 v29, 1, v29                              // 000000004624: 243A3A81
	v_mul_i32_i24_e32 v29, s71, v29                            // 000000004628: 0C3A3A47
	v_and_b32_e32 v30, 2, v28                                  // 00000000462C: 263C3882
	v_lshlrev_b32_e32 v30, 5, v30                              // 000000004630: 243C3C85
	v_add_u32_e32 v29, v30, v29                                // 000000004634: 683A3B1E
	v_and_b32_e32 v28, 15, v0                                  // 000000004638: 2638008F
	v_lshlrev_b32_e32 v28, 2, v28                              // 00000000463C: 24383882
	v_add_u32_e32 v212, v28, v29                               // 000000004640: 69A83B1C
	s_mul_i32 s60, s46, s71                                    // 000000004644: 923C472E
	s_mul_i32 s60, s60, 4                                      // 000000004648: 923C843C
	v_add_u32_e32 v212, s60, v212                              // 00000000464C: 69A9A83C
	v_add_u32_e32 v213, s71, v212                              // 000000004650: 69ABA847
	v_lshrrev_b32_e32 v1, 2, v1                                // 000000004654: 20020282
	v_lshrrev_b32_e32 v2, 2, v2                                // 000000004658: 20040482
	v_lshrrev_b32_e32 v212, 2, v212                            // 00000000465C: 21A9A882
	v_lshrrev_b32_e32 v213, 2, v213                            // 000000004660: 21ABAA82
	s_mov_b32 s70, s52                                         // 000000004664: BEC60034
	v_lshrrev_b32_e32 v28, 3, v0                               // 000000004668: 20380083
	v_mul_i32_i24_e32 v3, s70, v28                             // 00000000466C: 0C063846
	v_lshrrev_b32_e32 v3, 2, v3                                // 000000004670: 20060682
	v_and_b32_e32 v28, 7, v0                                   // 000000004674: 26380087
	v_lshlrev_b32_e32 v29, 2, v28                              // 000000004678: 243A3882
	v_add_u32_e32 v3, v29, v3                                  // 00000000467C: 6806071D
	s_mul_i32 s60, 16, s70                                     // 000000004680: 923C4690
	s_mul_i32 s60, s46, s60                                    // 000000004684: 923C3C2E
	v_lshlrev_b32_e32 v3, 2, v3                                // 000000004688: 24060682
	v_add_u32_e32 v3, s60, v3                                  // 00000000468C: 6806063C
	s_mul_i32 s60, 8, s70                                      // 000000004690: 923C4688
	v_add_u32_e32 v4, s60, v3                                  // 000000004694: 6808063C
	s_mul_i32 s60, s52, s59                                    // 000000004698: 923C3B34
	v_add_u32_e32 v3, s60, v3                                  // 00000000469C: 6806063C
	v_lshrrev_b32_e32 v3, 2, v3                                // 0000000046A0: 20060682
	v_add_u32_e32 v4, s60, v4                                  // 0000000046A4: 6808083C
	v_lshrrev_b32_e32 v4, 2, v4                                // 0000000046A8: 20080882
	s_mov_b32 s70, s53                                         // 0000000046AC: BEC60035
	v_lshrrev_b32_e32 v28, 3, v0                               // 0000000046B0: 20380083
	v_mul_i32_i24_e32 v5, s70, v28                             // 0000000046B4: 0C0A3846
	v_lshrrev_b32_e32 v5, 2, v5                                // 0000000046B8: 200A0A82
	v_and_b32_e32 v28, 7, v0                                   // 0000000046BC: 26380087
	v_lshlrev_b32_e32 v29, 2, v28                              // 0000000046C0: 243A3882
	v_add_u32_e32 v5, v29, v5                                  // 0000000046C4: 680A0B1D
	s_mul_i32 s60, 16, s70                                     // 0000000046C8: 923C4690
	s_mul_i32 s60, s46, s60                                    // 0000000046CC: 923C3C2E
	v_lshlrev_b32_e32 v5, 2, v5                                // 0000000046D0: 240A0A82
	v_add_u32_e32 v5, s60, v5                                  // 0000000046D4: 680A0A3C
	s_mul_i32 s60, 8, s70                                      // 0000000046D8: 923C4688
	v_add_u32_e32 v6, s60, v5                                  // 0000000046DC: 680C0A3C
	s_mul_i32 s60, s53, s59                                    // 0000000046E0: 923C3B35
	v_add_u32_e32 v5, s60, v5                                  // 0000000046E4: 680A0A3C
	v_lshrrev_b32_e32 v5, 2, v5                                // 0000000046E8: 200A0A82
	v_add_u32_e32 v6, s60, v6                                  // 0000000046EC: 680C0C3C
	v_lshrrev_b32_e32 v6, 2, v6                                // 0000000046F0: 200C0C82
	s_cmp_ge_i32 s59, s85                                      // 0000000046F4: BF03553B
	s_cselect_b32 s59, s85, s59                                // 0000000046F8: 853B3B55
	s_add_u32 s73, 16, s59                                     // 0000000046FC: 80493B90
	s_mul_i32 s55, s5, s59                                     // 000000004700: 92373B05
	s_sub_i32 s61, s85, s59                                    // 000000004704: 81BD3B55
	s_mul_i32 s62, s5, s61                                     // 000000004708: 923E3D05
	s_lshr_b32 s62, s62, 2                                     // 00000000470C: 8F3E823E
	s_mov_b32 s10, s62                                         // 000000004710: BE8A003E
	s_add_u32 s8, s55, s90                                     // 000000004714: 80085A37
	s_addc_u32 s9, 0, s91                                      // 000000004718: 82095B80
	s_mul_i32 s56, s51, s59                                    // 00000000471C: 92383B33
	s_mul_i32 s62, s51, s61                                    // 000000004720: 923E3D33
	s_lshr_b32 s62, s62, 2                                     // 000000004724: 8F3E823E
	s_mov_b32 s22, s62                                         // 000000004728: BE96003E
	s_add_u32 s20, s56, s98                                    // 00000000472C: 80146238
	s_addc_u32 s21, 0, s99                                     // 000000004730: 82156380
	s_mul_i32 s65, s59, 4                                      // 000000004734: 9241843B
	v_and_b32_e32 v9, 15, v0                                   // 000000004738: 2612008F
	v_lshlrev_b32_e32 v9, 2, v9                                // 00000000473C: 24121282
	v_add_u32_e32 v9, s65, v9                                  // 000000004740: 68121241
	v_lshrrev_b32_e32 v9, 2, v9                                // 000000004744: 20121282
	v_lshrrev_b32_e32 v28, 5, v0                               // 000000004748: 20380085
	v_mul_i32_i24_e64 v29, s50, 2                              // 00000000474C: D106001D 00010432
	v_mul_i32_i24_e32 v7, v29, v28                             // 000000004754: 0C0E391D
	v_and_b32_e32 v28, 31, v0                                  // 000000004758: 2638009F
	v_add_u32_e32 v7, v28, v7                                  // 00000000475C: 680E0F1C
	s_mul_i32 s60, 4, s50                                      // 000000004760: 923C3284
	s_mul_i32 s60, s46, s60                                    // 000000004764: 923C3C2E
	v_add_u32_e32 v7, s60, v7                                  // 000000004768: 680E0E3C
	v_lshlrev_b32_e32 v7, 2, v7                                // 00000000476C: 240E0E82
	v_mul_i32_i24_e32 v29, 2, v29                              // 000000004770: 0C3A3A82
	v_add_u32_e32 v8, v29, v7                                  // 000000004774: 68100F1D
	s_mul_i32 s60, s50, s65                                    // 000000004778: 923C4132
	v_add_u32_e32 v7, s60, v7                                  // 00000000477C: 680E0E3C
	v_add_u32_e32 v8, s60, v8                                  // 000000004780: 6810103C
	v_lshrrev_b32_e32 v28, 2, v0                               // 000000004784: 20380082
	v_and_b32_e32 v29, 3, v28                                  // 000000004788: 263A3883
	v_lshrrev_b32_e32 v30, 3, v28                              // 00000000478C: 203C3883
	v_lshlrev_b32_e32 v30, 2, v30                              // 000000004790: 243C3C82
	v_add_u32_e32 v28, v30, v29                                // 000000004794: 68383B1E
	v_mov_b32_e32 v30, s50                                     // 000000004798: 7E3C0232
	v_mov_b32_e32 v29, 0x80                                    // 00000000479C: 7E3A02FF 00000080
	v_sub_u32_e32 v30, v30, v29                                // 0000000047A4: 6A3C3B1E
	v_lshrrev_b32_e32 v30, 3, v30                              // 0000000047A8: 203C3C83
	v_cmp_lt_u32_e64 s[82:83], v28, v30                        // 0000000047AC: D0C90052 00023D1C
	v_and_b32_e32 v28, 31, v0                                  // 0000000047B4: 2638009F
	v_lshrrev_b32_e32 v28, 3, v28                              // 0000000047B8: 20383883
	v_mov_b32_e32 v29, s50                                     // 0000000047BC: 7E3A0232
	v_mov_b32_e32 v30, 0x80                                    // 0000000047C0: 7E3C02FF 00000080
	v_sub_u32_e32 v29, v29, v30                                // 0000000047C8: 6A3A3D1D
	v_lshrrev_b32_e32 v29, 3, v29                              // 0000000047CC: 203A3A83
	v_cmp_lt_u32_e64 s[44:45], v28, v29                        // 0000000047D0: D0C9002C 00023B1C
	v_add_u32_e32 v28, 4, v28                                  // 0000000047D8: 68383884
	v_cmp_lt_u32_e64 s[92:93], v28, v29                        // 0000000047DC: D0C9005C 00023B1C
	s_mul_i32 s60, 64, s2                                      // 0000000047E4: 923C02C0
	s_sub_i32 s84, s87, s60                                    // 0000000047E8: 81D43C57
	v_and_b32_e32 v28, 31, v0                                  // 0000000047EC: 2638009F
	v_lshrrev_b32_e32 v28, 1, v28                              // 0000000047F0: 20383881
	v_and_b32_e32 v29, 1, v28                                  // 0000000047F4: 263A3881
	v_lshlrev_b32_e32 v29, 4, v29                              // 0000000047F8: 243A3A84
	v_and_b32_e32 v30, 2, v28                                  // 0000000047FC: 263C3882
	v_lshlrev_b32_e32 v30, 2, v30                              // 000000004800: 243C3C82
	v_add_u32_e32 v29, v30, v29                                // 000000004804: 683A3B1E
	v_and_b32_e32 v30, 12, v28                                 // 000000004808: 263C388C
	v_lshrrev_b32_e32 v30, 1, v30                              // 00000000480C: 203C3C81
	v_add_u32_e32 v29, v30, v29                                // 000000004810: 683A3B1E
	v_lshrrev_b32_e32 v28, 5, v0                               // 000000004814: 20380085
	v_mul_i32_i24_e32 v30, 0x80, v28                           // 000000004818: 0C3C38FF 00000080
	v_add_u32_e32 v29, v30, v29                                // 000000004820: 683A3B1E
	v_and_b32_e32 v30, 1, v0                                   // 000000004824: 263C0081
	v_add_u32_e32 v11, v30, v29                                // 000000004828: 68163B1E
	s_mul_i32 s60, s46, 32                                     // 00000000482C: 923CA02E
	v_add_u32_e32 v11, s60, v11                                // 000000004830: 6816163C
	v_lshlrev_b32_e32 v11, 2, v11                              // 000000004834: 24161682
	v_lshrrev_b32_e32 v28, 4, v0                               // 000000004838: 20380084
	v_and_b32_e32 v29, 1, v28                                  // 00000000483C: 263A3881
	v_lshlrev_b32_e32 v29, 4, v29                              // 000000004840: 243A3A84
	v_and_b32_e32 v30, 2, v28                                  // 000000004844: 263C3882
	v_mul_i32_i24_e32 v30, 4, v30                              // 000000004848: 0C3C3C84
	v_add_u32_e32 v29, v30, v29                                // 00000000484C: 683A3B1E
	v_and_b32_e32 v28, 15, v0                                  // 000000004850: 2638008F
	v_lshrrev_b32_e32 v30, 2, v28                              // 000000004854: 203C3882
	v_lshlrev_b32_e32 v30, 5, v30                              // 000000004858: 243C3C85
	v_add_u32_e32 v29, v30, v29                                // 00000000485C: 683A3B1E
	v_and_b32_e32 v28, 3, v0                                   // 000000004860: 26380083
	v_and_b32_e32 v30, 1, v28                                  // 000000004864: 263C3881
	v_mul_i32_i24_e32 v30, 0x108, v30                          // 000000004868: 0C3C3CFF 00000108
	v_add_u32_e32 v29, v30, v29                                // 000000004870: 683A3B1E
	v_and_b32_e32 v30, 2, v28                                  // 000000004874: 263C3882
	v_lshlrev_b32_e32 v30, 1, v30                              // 000000004878: 243C3C81
	v_add_u32_e32 v10, v30, v29                                // 00000000487C: 68143B1E
	v_lshlrev_b32_e32 v10, 2, v10                              // 000000004880: 24141482
	s_mul_i32 s60, s46, 0x1980                                 // 000000004884: 923CFF2E 00001980
	v_add_u32_e32 v22, s60, v10                                // 00000000488C: 682C143C
	v_lshrrev_b32_e32 v28, 5, v0                               // 000000004890: 20380085
	v_mul_i32_i24_e32 v13, 0x80, v28                           // 000000004894: 0C1A38FF 00000080
	v_and_b32_e32 v28, 31, v0                                  // 00000000489C: 2638009F
	v_and_b32_e32 v29, 7, v28                                  // 0000000048A0: 263A3887
	v_and_b32_e32 v30, 1, v29                                  // 0000000048A4: 263C3A81
	v_lshlrev_b32_e32 v30, 2, v30                              // 0000000048A8: 243C3C82
	v_add_u32_e32 v13, v30, v13                                // 0000000048AC: 681A1B1E
	v_and_b32_e32 v30, 2, v29                                  // 0000000048B0: 263C3A82
	v_lshlrev_b32_e32 v30, 3, v30                              // 0000000048B4: 243C3C83
	v_add_u32_e32 v13, v30, v13                                // 0000000048B8: 681A1B1E
	v_and_b32_e32 v30, 4, v29                                  // 0000000048BC: 263C3A84
	v_lshlrev_b32_e32 v30, 1, v30                              // 0000000048C0: 243C3C81
	v_add_u32_e32 v13, v30, v13                                // 0000000048C4: 681A1B1E
	v_lshrrev_b32_e32 v29, 3, v28                              // 0000000048C8: 203A3883
	v_and_b32_e32 v30, 1, v29                                  // 0000000048CC: 263C3A81
	v_lshlrev_b32_e32 v30, 1, v30                              // 0000000048D0: 243C3C81
	v_add_u32_e32 v13, v30, v13                                // 0000000048D4: 681A1B1E
	v_and_b32_e32 v30, 2, v29                                  // 0000000048D8: 263C3A82
	v_lshrrev_b32_e32 v30, 1, v30                              // 0000000048DC: 203C3C81
	v_add_u32_e32 v13, v30, v13                                // 0000000048E0: 681A1B1E
	s_mul_i32 s60, s46, 32                                     // 0000000048E4: 923CA02E
	v_add_u32_e32 v13, s60, v13                                // 0000000048E8: 681A1A3C
	v_lshlrev_b32_e32 v13, 2, v13                              // 0000000048EC: 241A1A82
	v_and_b32_e32 v28, 15, v0                                  // 0000000048F0: 2638008F
	v_and_b32_e32 v30, 1, v28                                  // 0000000048F4: 263C3881
	v_mul_i32_i24_e32 v12, 0x108, v30                          // 0000000048F8: 0C183CFF 00000108
	v_and_b32_e32 v30, 2, v28                                  // 000000004900: 263C3882
	v_lshlrev_b32_e32 v30, 1, v30                              // 000000004904: 243C3C81
	v_add_u32_e32 v12, v30, v12                                // 000000004908: 6818191E
	v_and_b32_e32 v30, 4, v28                                  // 00000000490C: 263C3884
	v_lshlrev_b32_e32 v30, 2, v30                              // 000000004910: 243C3C82
	v_add_u32_e32 v12, v30, v12                                // 000000004914: 6818191E
	v_and_b32_e32 v30, 8, v28                                  // 000000004918: 263C3888
	v_add_u32_e32 v12, v30, v12                                // 00000000491C: 6818191E
	v_lshrrev_b32_e32 v28, 4, v0                               // 000000004920: 20380084
	v_and_b32_e32 v30, 1, v28                                  // 000000004924: 263C3881
	v_lshlrev_b32_e32 v30, 5, v30                              // 000000004928: 243C3C85
	v_add_u32_e32 v12, v30, v12                                // 00000000492C: 6818191E
	v_and_b32_e32 v29, 2, v28                                  // 000000004930: 263A3882
	v_mul_i32_i24_e32 v30, 32, v29                             // 000000004934: 0C3C3AA0
	v_add_u32_e32 v12, v30, v12                                // 000000004938: 6818191E
	v_lshlrev_b32_e32 v12, 2, v12                              // 00000000493C: 24181882
	v_lshrrev_b32_e32 v28, 4, v0                               // 000000004940: 20380084
	v_mul_i32_i24_e32 v21, 4, v28                              // 000000004944: 0C2A3884
	v_and_b32_e32 v29, 3, v0                                   // 000000004948: 263A0083
	v_add_u32_e32 v21, v29, v21                                // 00000000494C: 682A2B1D
	v_lshlrev_b32_e32 v21, 2, v21                              // 000000004950: 242A2A82
	v_lshrrev_b32_e32 v28, 5, v0                               // 000000004954: 20380085
	v_mul_i32_i24_e32 v26, 0x104, v28                          // 000000004958: 0C3438FF 00000104
	v_and_b32_e32 v28, 31, v0                                  // 000000004960: 2638009F
	v_and_b32_e32 v29, 7, v28                                  // 000000004964: 263A3887
	v_lshlrev_b32_e32 v30, 2, v29                              // 000000004968: 243C3A82
	v_add_u32_e32 v26, v30, v26                                // 00000000496C: 6834351E
	v_lshrrev_b32_e32 v29, 3, v28                              // 000000004970: 203A3883
	v_and_b32_e32 v30, 1, v29                                  // 000000004974: 263C3A81
	v_mul_i32_i24_e32 v30, 0x82, v30                           // 000000004978: 0C3C3CFF 00000082
	v_add_u32_e32 v26, v30, v26                                // 000000004980: 6834351E
	v_and_b32_e32 v30, 2, v29                                  // 000000004984: 263C3A82
	v_lshrrev_b32_e32 v30, 1, v30                              // 000000004988: 203C3C81
	v_add_u32_e32 v26, v30, v26                                // 00000000498C: 6834351E
	s_mul_i32 s60, s46, 32                                     // 000000004990: 923CA02E
	v_add_u32_e32 v26, s60, v26                                // 000000004994: 6834343C
	v_lshlrev_b32_e32 v26, 2, v26                              // 000000004998: 24343482
	v_lshrrev_b32_e32 v28, 5, v0                               // 00000000499C: 20380085
	v_mul_i32_i24_e32 v23, 0x618, v28                          // 0000000049A0: 0C2E38FF 00000618
	v_and_b32_e32 v28, 31, v0                                  // 0000000049A8: 2638009F
	v_lshlrev_b32_e32 v28, 1, v28                              // 0000000049AC: 24383881
	v_add_u32_e32 v23, v28, v23                                // 0000000049B0: 682E2F1C
	s_mul_i32 s60, s46, 0x186                                  // 0000000049B4: 923CFF2E 00000186
	v_add_u32_e32 v23, s60, v23                                // 0000000049BC: 682E2E3C
	v_lshlrev_b32_e32 v23, 2, v23                              // 0000000049C0: 242E2E82
	v_lshrrev_b32_e32 v28, 4, v0                               // 0000000049C4: 20380084
	v_and_b32_e32 v29, 1, v28                                  // 0000000049C8: 263A3881
	v_mul_i32_i24_e32 v19, 0x100, v29                          // 0000000049CC: 0C263AFF 00000100
	v_and_b32_e32 v29, 2, v28                                  // 0000000049D4: 263A3882
	v_mul_i32_i24_e32 v29, 64, v29                             // 0000000049D8: 0C3A3AC0
	v_add_u32_e32 v19, v29, v19                                // 0000000049DC: 6826271D
	v_and_b32_e32 v28, 15, v0                                  // 0000000049E0: 2638008F
	v_mul_i32_i24_e32 v29, 2, v28                              // 0000000049E4: 0C3A3882
	v_add_u32_e32 v19, v29, v19                                // 0000000049E8: 6826271D
	s_mul_i32 s60, s46, 32                                     // 0000000049EC: 923CA02E
	v_add_u32_e32 v19, s60, v19                                // 0000000049F0: 6826263C
	v_lshlrev_b32_e32 v19, 2, v19                              // 0000000049F4: 24262682
	v_lshlrev_b32_e32 v20, 1, v0                               // 0000000049F8: 24280081
	s_mul_i32 s60, s46, 0x300                                  // 0000000049FC: 923CFF2E 00000300
	v_add_u32_e32 v20, s60, v20                                // 000000004A04: 6828283C
	v_lshlrev_b32_e32 v20, 2, v20                              // 000000004A08: 24282882
	v_lshrrev_b32_e32 v28, 5, v0                               // 000000004A0C: 20380085
	v_mul_i32_i24_e32 v17, 64, v28                             // 000000004A10: 0C2238C0
	v_and_b32_e32 v28, 31, v0                                  // 000000004A14: 2638009F
	v_and_b32_e32 v28, 3, v28                                  // 000000004A18: 26383883
	v_and_b32_e32 v29, 1, v28                                  // 000000004A1C: 263A3881
	v_mul_i32_i24_e32 v29, 4, v29                              // 000000004A20: 0C3A3A84
	v_add_u32_e32 v17, v29, v17                                // 000000004A24: 6822231D
	v_and_b32_e32 v29, 2, v28                                  // 000000004A28: 263A3882
	v_mul_i32_i24_e32 v29, 0x44, v29                           // 000000004A2C: 0C3A3AFF 00000044
	v_add_u32_e32 v17, v29, v17                                // 000000004A34: 6822231D
	v_and_b32_e32 v28, 31, v0                                  // 000000004A38: 2638009F
	v_lshrrev_b32_e32 v28, 2, v28                              // 000000004A3C: 20383882
	v_lshrrev_b32_e32 v30, 2, v28                              // 000000004A40: 203C3882
	v_mul_i32_i24_e32 v29, 16, v30                             // 000000004A44: 0C3A3C90
	v_add_u32_e32 v17, v29, v17                                // 000000004A48: 6822231D
	v_and_b32_e32 v29, 2, v28                                  // 000000004A4C: 263A3882
	v_lshlrev_b32_e32 v29, 4, v29                              // 000000004A50: 243A3A84
	v_add_u32_e32 v17, v29, v17                                // 000000004A54: 6822231D
	v_and_b32_e32 v29, 1, v28                                  // 000000004A58: 263A3881
	v_xor_b32_e32 v29, v30, v29                                // 000000004A5C: 2A3A3B1E
	v_mul_i32_i24_e32 v29, 8, v29                              // 000000004A60: 0C3A3A88
	v_add_u32_e32 v17, v29, v17                                // 000000004A64: 6822231D
	v_lshlrev_b32_e32 v17, 2, v17                              // 000000004A68: 24222282
	v_lshrrev_b32_e32 v28, 5, v0                               // 000000004A6C: 20380085
	v_mul_i32_i24_e32 v18, 32, v28                             // 000000004A70: 0C2438A0
	v_and_b32_e32 v28, 31, v0                                  // 000000004A74: 2638009F
	v_and_b32_e32 v28, 3, v28                                  // 000000004A78: 26383883
	v_and_b32_e32 v29, 1, v28                                  // 000000004A7C: 263A3881
	v_mul_i32_i24_e32 v29, 4, v29                              // 000000004A80: 0C3A3A84
	v_add_u32_e32 v18, v29, v18                                // 000000004A84: 6824251D
	v_and_b32_e32 v29, 2, v28                                  // 000000004A88: 263A3882
	v_lshrrev_b32_e32 v29, 1, v29                              // 000000004A8C: 203A3A81
	v_add_u32_e32 v18, v29, v18                                // 000000004A90: 6824251D
	v_and_b32_e32 v28, 31, v0                                  // 000000004A94: 2638009F
	v_lshrrev_b32_e32 v28, 2, v28                              // 000000004A98: 20383882
	v_and_b32_e32 v30, 1, v28                                  // 000000004A9C: 263C3881
	v_mul_i32_i24_e32 v29, 16, v30                             // 000000004AA0: 0C3A3C90
	v_add_u32_e32 v18, v29, v18                                // 000000004AA4: 6824251D
	v_and_b32_e32 v29, 2, v28                                  // 000000004AA8: 263A3882
	v_add_u32_e32 v18, v29, v18                                // 000000004AAC: 6824251D
	v_lshrrev_b32_e32 v29, 2, v28                              // 000000004AB0: 203A3882
	v_xor_b32_e32 v29, v30, v29                                // 000000004AB4: 2A3A3B1E
	v_mul_i32_i24_e32 v29, 8, v29                              // 000000004AB8: 0C3A3A88
	v_add_u32_e32 v18, v29, v18                                // 000000004ABC: 6824251D
	s_and_b32 s60, 1, s46                                      // 000000004AC0: 863C2E81
	s_mul_i32 s60, s60, 64                                     // 000000004AC4: 923CC03C
	s_lshr_b32 s61, s46, 1                                     // 000000004AC8: 8F3D812E
	s_mul_i32 s61, s61, 0x120                                  // 000000004ACC: 923DFF3D 00000120
	s_add_u32 s60, s60, s61                                    // 000000004AD4: 803C3D3C
	v_add_u32_e32 v18, s60, v18                                // 000000004AD8: 6824243C
	v_lshlrev_b32_e32 v18, 2, v18                              // 000000004ADC: 24242482
	buffer_load_dword v160, v1, s[12:15], 0 idxen              // 000000004AE0: E0502000 8003A001
	buffer_load_dword v161, v2, s[12:15], 0 idxen              // 000000004AE8: E0502000 8003A102
	buffer_load_dword v162, v1, s[12:15], 0 idxen offset:128   // 000000004AF0: E0502080 8003A201
	buffer_load_dword v163, v2, s[12:15], 0 idxen offset:128   // 000000004AF8: E0502080 8003A302
	v_mov_b32_e32 v164, 0                                      // 000000004B00: 7F480280
	s_mov_b64 exec, s[82:83]                                   // 000000004B04: BEFE0152
	buffer_load_dword v164, v1, s[12:15], 0 idxen offset:256   // 000000004B08: E0502100 8003A401
	s_mov_b32 exec_lo, -1                                      // 000000004B10: BEFE00C1
	s_mov_b32 exec_hi, -1                                      // 000000004B14: BEFF00C1
	v_mov_b32_e32 v165, 0                                      // 000000004B18: 7F4A0280
	s_mov_b64 exec, s[82:83]                                   // 000000004B1C: BEFE0152
	buffer_load_dword v165, v2, s[12:15], 0 idxen offset:256   // 000000004B20: E0502100 8003A502
	s_mov_b32 exec_lo, -1                                      // 000000004B28: BEFE00C1
	s_mov_b32 exec_hi, -1                                      // 000000004B2C: BEFF00C1
	s_mul_i32 s60, 4, s6                                       // 000000004B30: 923C0684
	v_add_u32_e32 v1, s60, v1                                  // 000000004B34: 6802023C
	v_add_u32_e32 v2, s60, v2                                  // 000000004B38: 6804043C
	buffer_load_dword v166, v1, s[12:15], 0 idxen              // 000000004B3C: E0502000 8003A601
	buffer_load_dword v167, v2, s[12:15], 0 idxen              // 000000004B44: E0502000 8003A702
	buffer_load_dword v168, v1, s[12:15], 0 idxen offset:128   // 000000004B4C: E0502080 8003A801
	buffer_load_dword v169, v2, s[12:15], 0 idxen offset:128   // 000000004B54: E0502080 8003A902
	v_mov_b32_e32 v170, 0                                      // 000000004B5C: 7F540280
	s_mov_b64 exec, s[82:83]                                   // 000000004B60: BEFE0152
	buffer_load_dword v170, v1, s[12:15], 0 idxen offset:256   // 000000004B64: E0502100 8003AA01
	s_mov_b32 exec_lo, -1                                      // 000000004B6C: BEFE00C1
	s_mov_b32 exec_hi, -1                                      // 000000004B70: BEFF00C1
	v_mov_b32_e32 v171, 0                                      // 000000004B74: 7F560280
	s_mov_b64 exec, s[82:83]                                   // 000000004B78: BEFE0152
	buffer_load_dword v171, v2, s[12:15], 0 idxen offset:256   // 000000004B7C: E0502100 8003AB02
	s_mov_b32 exec_lo, -1                                      // 000000004B84: BEFE00C1
	s_mov_b32 exec_hi, -1                                      // 000000004B88: BEFF00C1
	s_mul_i32 s60, 4, s6                                       // 000000004B8C: 923C0684
	v_add_u32_e32 v1, s60, v1                                  // 000000004B90: 6802023C
	v_add_u32_e32 v2, s60, v2                                  // 000000004B94: 6804043C
	buffer_load_dword v172, v1, s[12:15], 0 idxen              // 000000004B98: E0502000 8003AC01
	buffer_load_dword v173, v2, s[12:15], 0 idxen              // 000000004BA0: E0502000 8003AD02
	buffer_load_dword v174, v1, s[12:15], 0 idxen offset:128   // 000000004BA8: E0502080 8003AE01
	buffer_load_dword v175, v2, s[12:15], 0 idxen offset:128   // 000000004BB0: E0502080 8003AF02
	v_mov_b32_e32 v176, 0                                      // 000000004BB8: 7F600280
	s_mov_b64 exec, s[82:83]                                   // 000000004BBC: BEFE0152
	buffer_load_dword v176, v1, s[12:15], 0 idxen offset:256   // 000000004BC0: E0502100 8003B001
	s_mov_b32 exec_lo, -1                                      // 000000004BC8: BEFE00C1
	s_mov_b32 exec_hi, -1                                      // 000000004BCC: BEFF00C1
	v_mov_b32_e32 v177, 0                                      // 000000004BD0: 7F620280
	s_mov_b64 exec, s[82:83]                                   // 000000004BD4: BEFE0152
	buffer_load_dword v177, v2, s[12:15], 0 idxen offset:256   // 000000004BD8: E0502100 8003B102
	s_mov_b32 exec_lo, -1                                      // 000000004BE0: BEFE00C1
	s_mov_b32 exec_hi, -1                                      // 000000004BE4: BEFF00C1
	s_mul_i32 s60, 4, s6                                       // 000000004BE8: 923C0684
	v_add_u32_e32 v1, s60, v1                                  // 000000004BEC: 6802023C
	v_add_u32_e32 v2, s60, v2                                  // 000000004BF0: 6804043C
	buffer_load_dword v178, v1, s[12:15], 0 idxen              // 000000004BF4: E0502000 8003B201
	buffer_load_dword v179, v2, s[12:15], 0 idxen              // 000000004BFC: E0502000 8003B302
	buffer_load_dword v180, v1, s[12:15], 0 idxen offset:128   // 000000004C04: E0502080 8003B401
	buffer_load_dword v181, v2, s[12:15], 0 idxen offset:128   // 000000004C0C: E0502080 8003B502
	v_mov_b32_e32 v182, 0                                      // 000000004C14: 7F6C0280
	s_mov_b64 exec, s[82:83]                                   // 000000004C18: BEFE0152
	buffer_load_dword v182, v1, s[12:15], 0 idxen offset:256   // 000000004C1C: E0502100 8003B601
	s_mov_b32 exec_lo, -1                                      // 000000004C24: BEFE00C1
	s_mov_b32 exec_hi, -1                                      // 000000004C28: BEFF00C1
	v_mov_b32_e32 v183, 0                                      // 000000004C2C: 7F6E0280
	s_mov_b64 exec, s[82:83]                                   // 000000004C30: BEFE0152
	buffer_load_dword v183, v2, s[12:15], 0 idxen offset:256   // 000000004C34: E0502100 8003B702
	s_mov_b32 exec_lo, -1                                      // 000000004C3C: BEFE00C1
	s_mov_b32 exec_hi, -1                                      // 000000004C40: BEFF00C1
	s_mul_i32 s60, 4, s6                                       // 000000004C44: 923C0684
	v_add_u32_e32 v1, s60, v1                                  // 000000004C48: 6802023C
	v_add_u32_e32 v2, s60, v2                                  // 000000004C4C: 6804043C
	s_waitcnt vmcnt(0) lgkmcnt(0)                              // 000000004C50: BF8C0070
	s_barrier                                                  // 000000004C54: BF8A0000
	v_perm_b32 v184, v161, v160, s63                           // 000000004C58: D1ED00B8 00FF41A1
	v_perm_b32 v185, v161, v160, s64                           // 000000004C60: D1ED00B9 010341A1
	v_perm_b32 v186, v163, v162, s63                           // 000000004C68: D1ED00BA 00FF45A3
	v_perm_b32 v187, v163, v162, s64                           // 000000004C70: D1ED00BB 010345A3
	v_perm_b32 v188, v165, v164, s63                           // 000000004C78: D1ED00BC 00FF49A5
	v_perm_b32 v189, v165, v164, s64                           // 000000004C80: D1ED00BD 010349A5
	v_perm_b32 v190, v167, v166, s63                           // 000000004C88: D1ED00BE 00FF4DA7
	v_perm_b32 v191, v167, v166, s64                           // 000000004C90: D1ED00BF 01034DA7
	v_perm_b32 v192, v169, v168, s63                           // 000000004C98: D1ED00C0 00FF51A9
	v_perm_b32 v193, v169, v168, s64                           // 000000004CA0: D1ED00C1 010351A9
	v_perm_b32 v194, v171, v170, s63                           // 000000004CA8: D1ED00C2 00FF55AB
	v_perm_b32 v195, v171, v170, s64                           // 000000004CB0: D1ED00C3 010355AB
	v_perm_b32 v196, v173, v172, s63                           // 000000004CB8: D1ED00C4 00FF59AD
	v_perm_b32 v197, v173, v172, s64                           // 000000004CC0: D1ED00C5 010359AD
	v_perm_b32 v198, v175, v174, s63                           // 000000004CC8: D1ED00C6 00FF5DAF
	v_perm_b32 v199, v175, v174, s64                           // 000000004CD0: D1ED00C7 01035DAF
	v_perm_b32 v200, v177, v176, s63                           // 000000004CD8: D1ED00C8 00FF61B1
	v_perm_b32 v201, v177, v176, s64                           // 000000004CE0: D1ED00C9 010361B1
	v_perm_b32 v202, v179, v178, s63                           // 000000004CE8: D1ED00CA 00FF65B3
	v_perm_b32 v203, v179, v178, s64                           // 000000004CF0: D1ED00CB 010365B3
	v_perm_b32 v204, v181, v180, s63                           // 000000004CF8: D1ED00CC 00FF69B5
	v_perm_b32 v205, v181, v180, s64                           // 000000004D00: D1ED00CD 010369B5
	v_perm_b32 v206, v183, v182, s63                           // 000000004D08: D1ED00CE 00FF6DB7
	v_perm_b32 v207, v183, v182, s64                           // 000000004D10: D1ED00CF 01036DB7
	ds_write_b32 v26, v184 offset:26112                        // 000000004D18: D81A6600 0000B81A
	ds_write_b32 v26, v185 offset:26120                        // 000000004D20: D81A6608 0000B91A
	ds_write_b32 v26, v186 offset:28192                        // 000000004D28: D81A6E20 0000BA1A
	ds_write_b32 v26, v187 offset:28200                        // 000000004D30: D81A6E28 0000BB1A
	ds_write_b32 v26, v188 offset:30272                        // 000000004D38: D81A7640 0000BC1A
	ds_write_b32 v26, v189 offset:30280                        // 000000004D40: D81A7648 0000BD1A
	ds_write_b32 v26, v190 offset:32352                        // 000000004D48: D81A7E60 0000BE1A
	ds_write_b32 v26, v191 offset:32360                        // 000000004D50: D81A7E68 0000BF1A
	ds_write_b32 v26, v192 offset:34432                        // 000000004D58: D81A8680 0000C01A
	ds_write_b32 v26, v193 offset:34440                        // 000000004D60: D81A8688 0000C11A
	ds_write_b32 v26, v194 offset:36512                        // 000000004D68: D81A8EA0 0000C21A
	ds_write_b32 v26, v195 offset:36520                        // 000000004D70: D81A8EA8 0000C31A
	ds_write_b32 v26, v196 offset:38592                        // 000000004D78: D81A96C0 0000C41A
	ds_write_b32 v26, v197 offset:38600                        // 000000004D80: D81A96C8 0000C51A
	ds_write_b32 v26, v198 offset:40672                        // 000000004D88: D81A9EE0 0000C61A
	ds_write_b32 v26, v199 offset:40680                        // 000000004D90: D81A9EE8 0000C71A
	ds_write_b32 v26, v200 offset:42752                        // 000000004D98: D81AA700 0000C81A
	ds_write_b32 v26, v201 offset:42760                        // 000000004DA0: D81AA708 0000C91A
	ds_write_b32 v26, v202 offset:44832                        // 000000004DA8: D81AAF20 0000CA1A
	ds_write_b32 v26, v203 offset:44840                        // 000000004DB0: D81AAF28 0000CB1A
	ds_write_b32 v26, v204 offset:46912                        // 000000004DB8: D81AB740 0000CC1A
	ds_write_b32 v26, v205 offset:46920                        // 000000004DC0: D81AB748 0000CD1A
	ds_write_b32 v26, v206 offset:48992                        // 000000004DC8: D81ABF60 0000CE1A
	ds_write_b32 v26, v207 offset:49000                        // 000000004DD0: D81ABF68 0000CF1A
	ds_write_b32 v11, v160                                     // 000000004DD8: D81A0000 0000A00B
	ds_write_b32 v11, v161 offset:1056                         // 000000004DE0: D81A0420 0000A10B
	ds_write_b32 v11, v162 offset:2176                         // 000000004DE8: D81A0880 0000A20B
	ds_write_b32 v11, v163 offset:3232                         // 000000004DF0: D81A0CA0 0000A30B
	ds_write_b32 v11, v164 offset:4352                         // 000000004DF8: D81A1100 0000A40B
	ds_write_b32 v11, v165 offset:5408                         // 000000004E00: D81A1520 0000A50B
	ds_write_b32 v11, v166 offset:6528                         // 000000004E08: D81A1980 0000A60B
	ds_write_b32 v11, v167 offset:7584                         // 000000004E10: D81A1DA0 0000A70B
	ds_write_b32 v11, v168 offset:8704                         // 000000004E18: D81A2200 0000A80B
	ds_write_b32 v11, v169 offset:9760                         // 000000004E20: D81A2620 0000A90B
	ds_write_b32 v11, v170 offset:10880                        // 000000004E28: D81A2A80 0000AA0B
	ds_write_b32 v11, v171 offset:11936                        // 000000004E30: D81A2EA0 0000AB0B
	ds_write_b32 v11, v172 offset:13056                        // 000000004E38: D81A3300 0000AC0B
	ds_write_b32 v11, v173 offset:14112                        // 000000004E40: D81A3720 0000AD0B
	ds_write_b32 v11, v174 offset:15232                        // 000000004E48: D81A3B80 0000AE0B
	ds_write_b32 v11, v175 offset:16288                        // 000000004E50: D81A3FA0 0000AF0B
	ds_write_b32 v11, v176 offset:17408                        // 000000004E58: D81A4400 0000B00B
	ds_write_b32 v11, v177 offset:18464                        // 000000004E60: D81A4820 0000B10B
	ds_write_b32 v11, v178 offset:19584                        // 000000004E68: D81A4C80 0000B20B
	ds_write_b32 v11, v179 offset:20640                        // 000000004E70: D81A50A0 0000B30B
	ds_write_b32 v11, v180 offset:21760                        // 000000004E78: D81A5500 0000B40B
	ds_write_b32 v11, v181 offset:22816                        // 000000004E80: D81A5920 0000B50B
	ds_write_b32 v11, v182 offset:23936                        // 000000004E88: D81A5D80 0000B60B
	ds_write_b32 v11, v183 offset:24992                        // 000000004E90: D81A61A0 0000B70B
	s_waitcnt lgkmcnt(0)                                       // 000000004E98: BF8CC07F
	s_barrier                                                  // 000000004E9C: BF8A0000
	buffer_load_dword v160, v212, s[16:19], 0 idxen            // 000000004EA0: E0502000 8004A0D4
	buffer_load_dword v161, v213, s[16:19], 0 idxen            // 000000004EA8: E0502000 8004A1D5
	buffer_load_dword v162, v212, s[16:19], 0 idxen offset:128 // 000000004EB0: E0502080 8004A2D4
	buffer_load_dword v163, v213, s[16:19], 0 idxen offset:128 // 000000004EB8: E0502080 8004A3D5
	v_mov_b32_e32 v164, 0                                      // 000000004EC0: 7F480280
	s_mov_b64 exec, s[82:83]                                   // 000000004EC4: BEFE0152
	buffer_load_dword v164, v212, s[16:19], 0 idxen offset:256 // 000000004EC8: E0502100 8004A4D4
	s_mov_b32 exec_lo, -1                                      // 000000004ED0: BEFE00C1
	s_mov_b32 exec_hi, -1                                      // 000000004ED4: BEFF00C1
	v_mov_b32_e32 v165, 0                                      // 000000004ED8: 7F4A0280
	s_mov_b64 exec, s[82:83]                                   // 000000004EDC: BEFE0152
	buffer_load_dword v165, v213, s[16:19], 0 idxen offset:256 // 000000004EE0: E0502100 8004A5D5
	s_mov_b32 exec_lo, -1                                      // 000000004EE8: BEFE00C1
	s_mov_b32 exec_hi, -1                                      // 000000004EEC: BEFF00C1
	s_mul_i32 s60, 4, s7                                       // 000000004EF0: 923C0784
	v_add_u32_e32 v212, s60, v212                              // 000000004EF4: 69A9A83C
	v_add_u32_e32 v213, s60, v213                              // 000000004EF8: 69ABAA3C
	buffer_load_dword v166, v212, s[16:19], 0 idxen            // 000000004EFC: E0502000 8004A6D4
	buffer_load_dword v167, v213, s[16:19], 0 idxen            // 000000004F04: E0502000 8004A7D5
	buffer_load_dword v168, v212, s[16:19], 0 idxen offset:128 // 000000004F0C: E0502080 8004A8D4
	buffer_load_dword v169, v213, s[16:19], 0 idxen offset:128 // 000000004F14: E0502080 8004A9D5
	v_mov_b32_e32 v170, 0                                      // 000000004F1C: 7F540280
	s_mov_b64 exec, s[82:83]                                   // 000000004F20: BEFE0152
	buffer_load_dword v170, v212, s[16:19], 0 idxen offset:256 // 000000004F24: E0502100 8004AAD4
	s_mov_b32 exec_lo, -1                                      // 000000004F2C: BEFE00C1
	s_mov_b32 exec_hi, -1                                      // 000000004F30: BEFF00C1
	v_mov_b32_e32 v171, 0                                      // 000000004F34: 7F560280
	s_mov_b64 exec, s[82:83]                                   // 000000004F38: BEFE0152
	buffer_load_dword v171, v213, s[16:19], 0 idxen offset:256 // 000000004F3C: E0502100 8004ABD5
	s_mov_b32 exec_lo, -1                                      // 000000004F44: BEFE00C1
	s_mov_b32 exec_hi, -1                                      // 000000004F48: BEFF00C1
	s_mul_i32 s60, 4, s7                                       // 000000004F4C: 923C0784
	v_add_u32_e32 v212, s60, v212                              // 000000004F50: 69A9A83C
	v_add_u32_e32 v213, s60, v213                              // 000000004F54: 69ABAA3C
	buffer_load_dword v172, v212, s[16:19], 0 idxen            // 000000004F58: E0502000 8004ACD4
	buffer_load_dword v173, v213, s[16:19], 0 idxen            // 000000004F60: E0502000 8004ADD5
	buffer_load_dword v174, v212, s[16:19], 0 idxen offset:128 // 000000004F68: E0502080 8004AED4
	buffer_load_dword v175, v213, s[16:19], 0 idxen offset:128 // 000000004F70: E0502080 8004AFD5
	v_mov_b32_e32 v176, 0                                      // 000000004F78: 7F600280
	s_mov_b64 exec, s[82:83]                                   // 000000004F7C: BEFE0152
	buffer_load_dword v176, v212, s[16:19], 0 idxen offset:256 // 000000004F80: E0502100 8004B0D4
	s_mov_b32 exec_lo, -1                                      // 000000004F88: BEFE00C1
	s_mov_b32 exec_hi, -1                                      // 000000004F8C: BEFF00C1
	v_mov_b32_e32 v177, 0                                      // 000000004F90: 7F620280
	s_mov_b64 exec, s[82:83]                                   // 000000004F94: BEFE0152
	buffer_load_dword v177, v213, s[16:19], 0 idxen offset:256 // 000000004F98: E0502100 8004B1D5
	s_mov_b32 exec_lo, -1                                      // 000000004FA0: BEFE00C1
	s_mov_b32 exec_hi, -1                                      // 000000004FA4: BEFF00C1
	s_mul_i32 s60, 4, s7                                       // 000000004FA8: 923C0784
	v_add_u32_e32 v212, s60, v212                              // 000000004FAC: 69A9A83C
	v_add_u32_e32 v213, s60, v213                              // 000000004FB0: 69ABAA3C
	buffer_load_dword v178, v212, s[16:19], 0 idxen            // 000000004FB4: E0502000 8004B2D4
	buffer_load_dword v179, v213, s[16:19], 0 idxen            // 000000004FBC: E0502000 8004B3D5
	buffer_load_dword v180, v212, s[16:19], 0 idxen offset:128 // 000000004FC4: E0502080 8004B4D4
	buffer_load_dword v181, v213, s[16:19], 0 idxen offset:128 // 000000004FCC: E0502080 8004B5D5
	v_mov_b32_e32 v182, 0                                      // 000000004FD4: 7F6C0280
	s_mov_b64 exec, s[82:83]                                   // 000000004FD8: BEFE0152
	buffer_load_dword v182, v212, s[16:19], 0 idxen offset:256 // 000000004FDC: E0502100 8004B6D4
	s_mov_b32 exec_lo, -1                                      // 000000004FE4: BEFE00C1
	s_mov_b32 exec_hi, -1                                      // 000000004FE8: BEFF00C1
	v_mov_b32_e32 v183, 0                                      // 000000004FEC: 7F6E0280
	s_mov_b64 exec, s[82:83]                                   // 000000004FF0: BEFE0152
	buffer_load_dword v183, v213, s[16:19], 0 idxen offset:256 // 000000004FF4: E0502100 8004B7D5
	s_mov_b32 exec_lo, -1                                      // 000000004FFC: BEFE00C1
	s_mov_b32 exec_hi, -1                                      // 000000005000: BEFF00C1
	s_mul_i32 s60, 4, s7                                       // 000000005004: 923C0784
	v_add_u32_e32 v212, s60, v212                              // 000000005008: 69A9A83C
	v_add_u32_e32 v213, s60, v213                              // 00000000500C: 69ABAA3C
	ds_read_b64 a[24:25], v23 offset:26112                     // 000000005010: DAEC6600 18000017
	ds_read_b64 a[26:27], v23 offset:26632                     // 000000005018: DAEC6808 1A000017
	ds_read_b64 a[28:29], v23 offset:27152                     // 000000005020: DAEC6A10 1C000017
	ds_read_b64 a[30:31], v23 offset:26368                     // 000000005028: DAEC6700 1E000017
	ds_read_b64 a[32:33], v23 offset:26888                     // 000000005030: DAEC6908 20000017
	ds_read_b64 a[34:35], v23 offset:27408                     // 000000005038: DAEC6B10 22000017
	ds_read_b64 a[36:37], v23 offset:38592                     // 000000005040: DAEC96C0 24000017
	ds_read_b64 a[38:39], v23 offset:39112                     // 000000005048: DAEC98C8 26000017
	ds_read_b64 a[40:41], v23 offset:39632                     // 000000005050: DAEC9AD0 28000017
	ds_read_b64 a[42:43], v23 offset:38848                     // 000000005058: DAEC97C0 2A000017
	ds_read_b64 a[44:45], v23 offset:39368                     // 000000005060: DAEC99C8 2C000017
	ds_read_b64 a[46:47], v23 offset:39888                     // 000000005068: DAEC9BD0 2E000017
	ds_read_b128 a[0:3], v22                                   // 000000005070: DBFE0000 00000016
	ds_read_b128 a[4:7], v22 offset:512                        // 000000005078: DBFE0200 04000016
	ds_read_b128 a[8:11], v22 offset:2176                      // 000000005080: DBFE0880 08000016
	ds_read_b128 a[12:15], v22 offset:2688                     // 000000005088: DBFE0A80 0C000016
	ds_read_b128 a[16:19], v22 offset:4352                     // 000000005090: DBFE1100 10000016
	ds_read_b128 a[20:23], v22 offset:4864                     // 000000005098: DBFE1300 14000016
	s_waitcnt vmcnt(0) lgkmcnt(0)                              // 0000000050A0: BF8C0070
	s_barrier                                                  // 0000000050A4: BF8A0000
	ds_write_b32 v11, v160                                     // 0000000050A8: D81A0000 0000A00B
	ds_write_b32 v11, v161 offset:1056                         // 0000000050B0: D81A0420 0000A10B
	ds_write_b32 v11, v162 offset:2176                         // 0000000050B8: D81A0880 0000A20B
	ds_write_b32 v11, v163 offset:3232                         // 0000000050C0: D81A0CA0 0000A30B
	ds_write_b32 v11, v164 offset:4352                         // 0000000050C8: D81A1100 0000A40B
	ds_write_b32 v11, v165 offset:5408                         // 0000000050D0: D81A1520 0000A50B
	ds_write_b32 v11, v166 offset:6528                         // 0000000050D8: D81A1980 0000A60B
	ds_write_b32 v11, v167 offset:7584                         // 0000000050E0: D81A1DA0 0000A70B
	ds_write_b32 v11, v168 offset:8704                         // 0000000050E8: D81A2200 0000A80B
	ds_write_b32 v11, v169 offset:9760                         // 0000000050F0: D81A2620 0000A90B
	ds_write_b32 v11, v170 offset:10880                        // 0000000050F8: D81A2A80 0000AA0B
	ds_write_b32 v11, v171 offset:11936                        // 000000005100: D81A2EA0 0000AB0B
	ds_write_b32 v11, v172 offset:13056                        // 000000005108: D81A3300 0000AC0B
	ds_write_b32 v11, v173 offset:14112                        // 000000005110: D81A3720 0000AD0B
	ds_write_b32 v11, v174 offset:15232                        // 000000005118: D81A3B80 0000AE0B
	ds_write_b32 v11, v175 offset:16288                        // 000000005120: D81A3FA0 0000AF0B
	ds_write_b32 v11, v176 offset:17408                        // 000000005128: D81A4400 0000B00B
	ds_write_b32 v11, v177 offset:18464                        // 000000005130: D81A4820 0000B10B
	ds_write_b32 v11, v178 offset:19584                        // 000000005138: D81A4C80 0000B20B
	ds_write_b32 v11, v179 offset:20640                        // 000000005140: D81A50A0 0000B30B
	ds_write_b32 v11, v180 offset:21760                        // 000000005148: D81A5500 0000B40B
	ds_write_b32 v11, v181 offset:22816                        // 000000005150: D81A5920 0000B50B
	ds_write_b32 v11, v182 offset:23936                        // 000000005158: D81A5D80 0000B60B
	ds_write_b32 v11, v183 offset:24992                        // 000000005160: D81A61A0 0000B70B
	s_mov_b32 s71, s5                                          // 000000005168: BEC70005
	v_lshrrev_b32_e32 v28, 4, v0                               // 00000000516C: 20380084
	v_and_b32_e32 v29, 1, v28                                  // 000000005170: 263A3881
	v_lshlrev_b32_e32 v29, 1, v29                              // 000000005174: 243A3A81
	v_mul_i32_i24_e32 v29, s71, v29                            // 000000005178: 0C3A3A47
	v_and_b32_e32 v30, 2, v28                                  // 00000000517C: 263C3882
	v_lshlrev_b32_e32 v30, 5, v30                              // 000000005180: 243C3C85
	v_add_u32_e32 v29, v30, v29                                // 000000005184: 683A3B1E
	v_and_b32_e32 v28, 15, v0                                  // 000000005188: 2638008F
	v_lshlrev_b32_e32 v28, 2, v28                              // 00000000518C: 24383882
	v_add_u32_e32 v1, v28, v29                                 // 000000005190: 68023B1C
	s_mul_i32 s60, s46, s71                                    // 000000005194: 923C472E
	s_mul_i32 s60, s60, 4                                      // 000000005198: 923C843C
	v_add_u32_e32 v1, s60, v1                                  // 00000000519C: 6802023C
	v_add_u32_e32 v2, s71, v1                                  // 0000000051A0: 68040247
	s_mov_b32 s71, s51                                         // 0000000051A4: BEC70033
	v_lshrrev_b32_e32 v28, 4, v0                               // 0000000051A8: 20380084
	v_and_b32_e32 v29, 1, v28                                  // 0000000051AC: 263A3881
	v_lshlrev_b32_e32 v29, 1, v29                              // 0000000051B0: 243A3A81
	v_mul_i32_i24_e32 v29, s71, v29                            // 0000000051B4: 0C3A3A47
	v_and_b32_e32 v30, 2, v28                                  // 0000000051B8: 263C3882
	v_lshlrev_b32_e32 v30, 5, v30                              // 0000000051BC: 243C3C85
	v_add_u32_e32 v29, v30, v29                                // 0000000051C0: 683A3B1E
	v_and_b32_e32 v28, 15, v0                                  // 0000000051C4: 2638008F
	v_lshlrev_b32_e32 v28, 2, v28                              // 0000000051C8: 24383882
	v_add_u32_e32 v212, v28, v29                               // 0000000051CC: 69A83B1C
	s_mul_i32 s60, s46, s71                                    // 0000000051D0: 923C472E
	s_mul_i32 s60, s60, 4                                      // 0000000051D4: 923C843C
	v_add_u32_e32 v212, s60, v212                              // 0000000051D8: 69A9A83C
	v_add_u32_e32 v213, s71, v212                              // 0000000051DC: 69ABA847
	v_lshrrev_b32_e32 v1, 2, v1                                // 0000000051E0: 20020282
	v_lshrrev_b32_e32 v2, 2, v2                                // 0000000051E4: 20040482
	v_lshrrev_b32_e32 v212, 2, v212                            // 0000000051E8: 21A9A882
	v_lshrrev_b32_e32 v213, 2, v213                            // 0000000051EC: 21ABAA82
	buffer_load_dword v32, v1, s[8:11], 0 idxen                // 0000000051F0: E0502000 80022001
	buffer_load_dword v33, v2, s[8:11], 0 idxen                // 0000000051F8: E0502000 80022102
	buffer_load_dword v34, v1, s[8:11], 0 idxen offset:128     // 000000005200: E0502080 80022201
	buffer_load_dword v35, v2, s[8:11], 0 idxen offset:128     // 000000005208: E0502080 80022302
	v_mov_b32_e32 v36, 0                                       // 000000005210: 7E480280
	s_mov_b64 exec, s[82:83]                                   // 000000005214: BEFE0152
	buffer_load_dword v36, v1, s[8:11], 0 idxen offset:256     // 000000005218: E0502100 80022401
	s_mov_b32 exec_lo, -1                                      // 000000005220: BEFE00C1
	s_mov_b32 exec_hi, -1                                      // 000000005224: BEFF00C1
	v_mov_b32_e32 v37, 0                                       // 000000005228: 7E4A0280
	s_mov_b64 exec, s[82:83]                                   // 00000000522C: BEFE0152
	buffer_load_dword v37, v2, s[8:11], 0 idxen offset:256     // 000000005230: E0502100 80022502
	s_mov_b32 exec_lo, -1                                      // 000000005238: BEFE00C1
	s_mov_b32 exec_hi, -1                                      // 00000000523C: BEFF00C1
	buffer_load_dword v44, v212, s[20:23], 0 idxen             // 000000005240: E0502000 80052CD4
	buffer_load_dword v45, v213, s[20:23], 0 idxen             // 000000005248: E0502000 80052DD5
	buffer_load_dword v46, v212, s[20:23], 0 idxen offset:128  // 000000005250: E0502080 80052ED4
	buffer_load_dword v47, v213, s[20:23], 0 idxen offset:128  // 000000005258: E0502080 80052FD5
	v_mov_b32_e32 v48, 0                                       // 000000005260: 7E600280
	s_mov_b64 exec, s[82:83]                                   // 000000005264: BEFE0152
	buffer_load_dword v48, v212, s[20:23], 0 idxen offset:256  // 000000005268: E0502100 800530D4
	s_mov_b32 exec_lo, -1                                      // 000000005270: BEFE00C1
	s_mov_b32 exec_hi, -1                                      // 000000005274: BEFF00C1
	v_mov_b32_e32 v49, 0                                       // 000000005278: 7E620280
	s_mov_b64 exec, s[82:83]                                   // 00000000527C: BEFE0152
	buffer_load_dword v49, v213, s[20:23], 0 idxen offset:256  // 000000005280: E0502100 800531D5
	s_mov_b32 exec_lo, -1                                      // 000000005288: BEFE00C1
	s_mov_b32 exec_hi, -1                                      // 00000000528C: BEFF00C1
	s_waitcnt lgkmcnt(0)                                       // 000000005290: BF8CC07F
	s_barrier                                                  // 000000005294: BF8A0000
	ds_read_b128 a[48:51], v22                                 // 000000005298: DBFE0000 30000016
	ds_read_b128 a[52:55], v22 offset:512                      // 0000000052A0: DBFE0200 34000016
	ds_read_b128 a[56:59], v22 offset:2176                     // 0000000052A8: DBFE0880 38000016
	ds_read_b128 a[60:63], v22 offset:2688                     // 0000000052B0: DBFE0A80 3C000016
	ds_read_b128 a[64:67], v22 offset:4352                     // 0000000052B8: DBFE1100 40000016
	ds_read_b128 a[68:71], v22 offset:4864                     // 0000000052C0: DBFE1300 44000016
	v_add_u32_e32 v1, s68, v1                                  // 0000000052C8: 68020244
	v_add_u32_e32 v2, s68, v2                                  // 0000000052CC: 68040444
	v_add_u32_e32 v212, s100, v212                             // 0000000052D0: 69A9A864
	v_add_u32_e32 v213, s100, v213                             // 0000000052D4: 69ABAA64
	buffer_load_dword v38, v1, s[8:11], 0 idxen                // 0000000052D8: E0502000 80022601
	buffer_load_dword v39, v2, s[8:11], 0 idxen                // 0000000052E0: E0502000 80022702
	buffer_load_dword v40, v1, s[8:11], 0 idxen offset:128     // 0000000052E8: E0502080 80022801
	buffer_load_dword v41, v2, s[8:11], 0 idxen offset:128     // 0000000052F0: E0502080 80022902
	v_mov_b32_e32 v42, 0                                       // 0000000052F8: 7E540280
	s_mov_b64 exec, s[82:83]                                   // 0000000052FC: BEFE0152
	buffer_load_dword v42, v1, s[8:11], 0 idxen offset:256     // 000000005300: E0502100 80022A01
	s_mov_b32 exec_lo, -1                                      // 000000005308: BEFE00C1
	s_mov_b32 exec_hi, -1                                      // 00000000530C: BEFF00C1
	v_mov_b32_e32 v43, 0                                       // 000000005310: 7E560280
	s_mov_b64 exec, s[82:83]                                   // 000000005314: BEFE0152
	buffer_load_dword v43, v2, s[8:11], 0 idxen offset:256     // 000000005318: E0502100 80022B02
	s_mov_b32 exec_lo, -1                                      // 000000005320: BEFE00C1
	s_mov_b32 exec_hi, -1                                      // 000000005324: BEFF00C1
	buffer_load_dword v50, v212, s[20:23], 0 idxen             // 000000005328: E0502000 800532D4
	buffer_load_dword v51, v213, s[20:23], 0 idxen             // 000000005330: E0502000 800533D5
	buffer_load_dword v52, v212, s[20:23], 0 idxen offset:128  // 000000005338: E0502080 800534D4
	buffer_load_dword v53, v213, s[20:23], 0 idxen offset:128  // 000000005340: E0502080 800535D5
	v_mov_b32_e32 v54, 0                                       // 000000005348: 7E6C0280
	s_mov_b64 exec, s[82:83]                                   // 00000000534C: BEFE0152
	buffer_load_dword v54, v212, s[20:23], 0 idxen offset:256  // 000000005350: E0502100 800536D4
	s_mov_b32 exec_lo, -1                                      // 000000005358: BEFE00C1
	s_mov_b32 exec_hi, -1                                      // 00000000535C: BEFF00C1
	v_mov_b32_e32 v55, 0                                       // 000000005360: 7E6E0280
	s_mov_b64 exec, s[82:83]                                   // 000000005364: BEFE0152
	buffer_load_dword v55, v213, s[20:23], 0 idxen offset:256  // 000000005368: E0502100 800537D5
	s_mov_b32 exec_lo, -1                                      // 000000005370: BEFE00C1
	s_mov_b32 exec_hi, -1                                      // 000000005374: BEFF00C1
	v_add_u32_e32 v1, s68, v1                                  // 000000005378: 68020244
	v_add_u32_e32 v2, s68, v2                                  // 00000000537C: 68040444
	v_add_u32_e32 v212, s100, v212                             // 000000005380: 69A9A864
	v_add_u32_e32 v213, s100, v213                             // 000000005384: 69ABAA64
	s_waitcnt vmcnt(12) lgkmcnt(0)                             // 000000005388: BF8C007C
	s_barrier                                                  // 00000000538C: BF8A0000
	buffer_load_dword v9, s[24:27], 0 idxen lds                // 000000005390: E0512000 80060009
	s_mov_b32 m0, s81                                          // 000000005398: BEFC0051
	v_add_u32_e32 v9, s69, v9                                  // 00000000539C: 68121245
	v_perm_b32 v68, v33, v32, s63                              // 0000000053A0: D1ED0044 00FE4121
	v_perm_b32 v69, v33, v32, s64                              // 0000000053A8: D1ED0045 01024121
	v_perm_b32 v70, v35, v34, s63                              // 0000000053B0: D1ED0046 00FE4523
	v_perm_b32 v71, v35, v34, s64                              // 0000000053B8: D1ED0047 01024523
	v_perm_b32 v72, v37, v36, s63                              // 0000000053C0: D1ED0048 00FE4925
	v_perm_b32 v73, v37, v36, s64                              // 0000000053C8: D1ED0049 01024925
	ds_write_b32 v13, v68 offset:6528                          // 0000000053D0: D81A1980 0000440D
	ds_write_b32 v13, v69 offset:7584                          // 0000000053D8: D81A1DA0 0000450D
	ds_write_b32 v13, v70 offset:8704                          // 0000000053E0: D81A2200 0000460D
	ds_write_b32 v13, v71 offset:9760                          // 0000000053E8: D81A2620 0000470D
	ds_write_b32 v13, v72 offset:10880                         // 0000000053F0: D81A2A80 0000480D
	ds_write_b32 v13, v73 offset:11936                         // 0000000053F8: D81A2EA0 0000490D
	ds_write_b32 v11, v32                                      // 000000005400: D81A0000 0000200B
	ds_write_b32 v11, v33 offset:1056                          // 000000005408: D81A0420 0000210B
	ds_write_b32 v11, v34 offset:2176                          // 000000005410: D81A0880 0000220B
	ds_write_b32 v11, v35 offset:3232                          // 000000005418: D81A0CA0 0000230B
	ds_write_b32 v11, v36 offset:4352                          // 000000005420: D81A1100 0000240B
	ds_write_b32 v11, v37 offset:5408                          // 000000005428: D81A1520 0000250B
	buffer_load_dword v9, s[24:27], 0 idxen lds                // 000000005430: E0512000 80060009
	s_mov_b32 m0, s80                                          // 000000005438: BEFC0050
	v_add_u32_e32 v9, s69, v9                                  // 00000000543C: 68121245
	v_perm_b32 v74, v45, v44, s63                              // 000000005440: D1ED004A 00FE592D
	v_perm_b32 v75, v45, v44, s64                              // 000000005448: D1ED004B 0102592D
	v_perm_b32 v76, v47, v46, s63                              // 000000005450: D1ED004C 00FE5D2F
	v_perm_b32 v77, v47, v46, s64                              // 000000005458: D1ED004D 01025D2F
	v_perm_b32 v78, v49, v48, s63                              // 000000005460: D1ED004E 00FE6131
	v_perm_b32 v79, v49, v48, s64                              // 000000005468: D1ED004F 01026131
	ds_write_b32 v13, v74 offset:19584                         // 000000005470: D81A4C80 00004A0D
	ds_write_b32 v13, v75 offset:20640                         // 000000005478: D81A50A0 00004B0D
	ds_write_b32 v13, v76 offset:21760                         // 000000005480: D81A5500 00004C0D
	ds_write_b32 v13, v77 offset:22816                         // 000000005488: D81A5920 00004D0D
	ds_write_b32 v13, v78 offset:23936                         // 000000005490: D81A5D80 00004E0D
	ds_write_b32 v13, v79 offset:24992                         // 000000005498: D81A61A0 00004F0D
	ds_write_b32 v11, v44 offset:13056                         // 0000000054A0: D81A3300 00002C0B
	ds_write_b32 v11, v45 offset:14112                         // 0000000054A8: D81A3720 00002D0B
	ds_write_b32 v11, v46 offset:15232                         // 0000000054B0: D81A3B80 00002E0B
	ds_write_b32 v11, v47 offset:16288                         // 0000000054B8: D81A3FA0 00002F0B
	ds_write_b32 v11, v48 offset:17408                         // 0000000054C0: D81A4400 0000300B
	ds_write_b32 v11, v49 offset:18464                         // 0000000054C8: D81A4820 0000310B
	s_waitcnt vmcnt(1) lgkmcnt(0)                              // 0000000054D0: BF8C0071
	s_barrier                                                  // 0000000054D4: BF8A0000
	ds_read_b128 a[72:75], v10                                 // 0000000054D8: DBFE0000 4800000A
	ds_read_b128 a[76:79], v10 offset:512                      // 0000000054E0: DBFE0200 4C00000A
	ds_read_b128 a[80:83], v10 offset:2176                     // 0000000054E8: DBFE0880 5000000A
	ds_read_b128 a[84:87], v10 offset:2688                     // 0000000054F0: DBFE0A80 5400000A
	ds_read_b128 a[88:91], v10 offset:4352                     // 0000000054F8: DBFE1100 5800000A
	ds_read_b128 a[92:95], v10 offset:4864                     // 000000005500: DBFE1300 5C00000A
	ds_read_b128 v[80:83], v10 offset:13056                    // 000000005508: D9FE3300 5000000A
	ds_read_b128 v[84:87], v10 offset:13568                    // 000000005510: D9FE3500 5400000A
	ds_read_b128 v[88:91], v10 offset:15232                    // 000000005518: D9FE3B80 5800000A
	ds_read_b128 v[92:95], v10 offset:15744                    // 000000005520: D9FE3D80 5C00000A
	ds_read_b128 v[96:99], v10 offset:17408                    // 000000005528: D9FE4400 6000000A
	ds_read_b128 v[100:103], v10 offset:17920                  // 000000005530: D9FE4600 6400000A
	ds_read_b32 v128, v21 offset:40704                         // 000000005538: D86C9F00 80000015
	ds_read_b32 v158, v21 offset:40960                         // 000000005540: D86CA000 9E000015
	v_accvgpr_write_b32 a96, 0                                 // 000000005548: D3D94060 18000080
	v_mov_b32_e32 v160, 0                                      // 000000005550: 7F400280
	v_accvgpr_write_b32 a97, 0                                 // 000000005554: D3D94061 18000080
	v_mov_b32_e32 v161, 0                                      // 00000000555C: 7F420280
	v_accvgpr_write_b32 a98, 0                                 // 000000005560: D3D94062 18000080
	v_mov_b32_e32 v162, 0                                      // 000000005568: 7F440280
	v_accvgpr_write_b32 a99, 0                                 // 00000000556C: D3D94063 18000080
	v_mov_b32_e32 v163, 0                                      // 000000005574: 7F460280
	v_accvgpr_write_b32 a100, 0                                // 000000005578: D3D94064 18000080
	v_mov_b32_e32 v164, 0                                      // 000000005580: 7F480280
	v_accvgpr_write_b32 a101, 0                                // 000000005584: D3D94065 18000080
	v_mov_b32_e32 v165, 0                                      // 00000000558C: 7F4A0280
	v_accvgpr_write_b32 a102, 0                                // 000000005590: D3D94066 18000080
	v_mov_b32_e32 v166, 0                                      // 000000005598: 7F4C0280
	v_accvgpr_write_b32 a103, 0                                // 00000000559C: D3D94067 18000080
	v_mov_b32_e32 v167, 0                                      // 0000000055A4: 7F4E0280
	v_accvgpr_write_b32 a104, 0                                // 0000000055A8: D3D94068 18000080
	v_mov_b32_e32 v168, 0                                      // 0000000055B0: 7F500280
	v_accvgpr_write_b32 a105, 0                                // 0000000055B4: D3D94069 18000080
	v_mov_b32_e32 v169, 0                                      // 0000000055BC: 7F520280
	v_accvgpr_write_b32 a106, 0                                // 0000000055C0: D3D9406A 18000080
	v_mov_b32_e32 v170, 0                                      // 0000000055C8: 7F540280
	v_accvgpr_write_b32 a107, 0                                // 0000000055CC: D3D9406B 18000080
	v_mov_b32_e32 v171, 0                                      // 0000000055D4: 7F560280
	v_accvgpr_write_b32 a108, 0                                // 0000000055D8: D3D9406C 18000080
	v_mov_b32_e32 v172, 0                                      // 0000000055E0: 7F580280
	v_accvgpr_write_b32 a109, 0                                // 0000000055E4: D3D9406D 18000080
	v_mov_b32_e32 v173, 0                                      // 0000000055EC: 7F5A0280
	v_accvgpr_write_b32 a110, 0                                // 0000000055F0: D3D9406E 18000080
	v_mov_b32_e32 v174, 0                                      // 0000000055F8: 7F5C0280
	v_accvgpr_write_b32 a111, 0                                // 0000000055FC: D3D9406F 18000080
	v_mov_b32_e32 v175, 0                                      // 000000005604: 7F5E0280
	v_accvgpr_write_b32 a112, 0                                // 000000005608: D3D94070 18000080
	v_mov_b32_e32 v176, 0                                      // 000000005610: 7F600280
	v_accvgpr_write_b32 a113, 0                                // 000000005614: D3D94071 18000080
	v_mov_b32_e32 v177, 0                                      // 00000000561C: 7F620280
	v_accvgpr_write_b32 a114, 0                                // 000000005620: D3D94072 18000080
	v_mov_b32_e32 v178, 0                                      // 000000005628: 7F640280
	v_accvgpr_write_b32 a115, 0                                // 00000000562C: D3D94073 18000080
	v_mov_b32_e32 v179, 0                                      // 000000005634: 7F660280
	v_accvgpr_write_b32 a116, 0                                // 000000005638: D3D94074 18000080
	v_mov_b32_e32 v180, 0                                      // 000000005640: 7F680280
	v_accvgpr_write_b32 a117, 0                                // 000000005644: D3D94075 18000080
	v_mov_b32_e32 v181, 0                                      // 00000000564C: 7F6A0280
	v_accvgpr_write_b32 a118, 0                                // 000000005650: D3D94076 18000080
	v_mov_b32_e32 v182, 0                                      // 000000005658: 7F6C0280
	v_accvgpr_write_b32 a119, 0                                // 00000000565C: D3D94077 18000080
	v_mov_b32_e32 v183, 0                                      // 000000005664: 7F6E0280
	v_accvgpr_write_b32 a120, 0                                // 000000005668: D3D94078 18000080
	v_mov_b32_e32 v184, 0                                      // 000000005670: 7F700280
	v_accvgpr_write_b32 a121, 0                                // 000000005674: D3D94079 18000080
	v_mov_b32_e32 v185, 0                                      // 00000000567C: 7F720280
	v_accvgpr_write_b32 a122, 0                                // 000000005680: D3D9407A 18000080
	v_mov_b32_e32 v186, 0                                      // 000000005688: 7F740280
	v_accvgpr_write_b32 a123, 0                                // 00000000568C: D3D9407B 18000080
	v_mov_b32_e32 v187, 0                                      // 000000005694: 7F760280
	v_accvgpr_write_b32 a124, 0                                // 000000005698: D3D9407C 18000080
	v_mov_b32_e32 v188, 0                                      // 0000000056A0: 7F780280
	v_accvgpr_write_b32 a125, 0                                // 0000000056A4: D3D9407D 18000080
	v_mov_b32_e32 v189, 0                                      // 0000000056AC: 7F7A0280
	v_accvgpr_write_b32 a126, 0                                // 0000000056B0: D3D9407E 18000080
	v_mov_b32_e32 v190, 0                                      // 0000000056B8: 7F7C0280
	v_accvgpr_write_b32 a127, 0                                // 0000000056BC: D3D9407F 18000080
	v_mov_b32_e32 v191, 0                                      // 0000000056C4: 7F7E0280
	v_accvgpr_write_b32 a128, 0                                // 0000000056C8: D3D94080 18000080
	v_mov_b32_e32 v192, 0                                      // 0000000056D0: 7F800280
	v_accvgpr_write_b32 a129, 0                                // 0000000056D4: D3D94081 18000080
	v_mov_b32_e32 v193, 0                                      // 0000000056DC: 7F820280
	v_accvgpr_write_b32 a130, 0                                // 0000000056E0: D3D94082 18000080
	v_mov_b32_e32 v194, 0                                      // 0000000056E8: 7F840280
	v_accvgpr_write_b32 a131, 0                                // 0000000056EC: D3D94083 18000080
	v_mov_b32_e32 v195, 0                                      // 0000000056F4: 7F860280
	v_accvgpr_write_b32 a132, 0                                // 0000000056F8: D3D94084 18000080
	v_mov_b32_e32 v196, 0                                      // 000000005700: 7F880280
	v_accvgpr_write_b32 a133, 0                                // 000000005704: D3D94085 18000080
	v_mov_b32_e32 v197, 0                                      // 00000000570C: 7F8A0280
	v_accvgpr_write_b32 a134, 0                                // 000000005710: D3D94086 18000080
	v_mov_b32_e32 v198, 0                                      // 000000005718: 7F8C0280
	v_accvgpr_write_b32 a135, 0                                // 00000000571C: D3D94087 18000080
	v_mov_b32_e32 v199, 0                                      // 000000005724: 7F8E0280
	v_accvgpr_write_b32 a136, 0                                // 000000005728: D3D94088 18000080
	v_mov_b32_e32 v200, 0                                      // 000000005730: 7F900280
	v_accvgpr_write_b32 a137, 0                                // 000000005734: D3D94089 18000080
	v_mov_b32_e32 v201, 0                                      // 00000000573C: 7F920280
	v_accvgpr_write_b32 a138, 0                                // 000000005740: D3D9408A 18000080
	v_mov_b32_e32 v202, 0                                      // 000000005748: 7F940280
	v_accvgpr_write_b32 a139, 0                                // 00000000574C: D3D9408B 18000080
	v_mov_b32_e32 v203, 0                                      // 000000005754: 7F960280
	v_accvgpr_write_b32 a140, 0                                // 000000005758: D3D9408C 18000080
	v_mov_b32_e32 v204, 0                                      // 000000005760: 7F980280
	v_accvgpr_write_b32 a141, 0                                // 000000005764: D3D9408D 18000080
	v_mov_b32_e32 v205, 0                                      // 00000000576C: 7F9A0280
	v_accvgpr_write_b32 a142, 0                                // 000000005770: D3D9408E 18000080
	v_mov_b32_e32 v206, 0                                      // 000000005778: 7F9C0280
	v_accvgpr_write_b32 a143, 0                                // 00000000577C: D3D9408F 18000080
	v_mov_b32_e32 v207, 0                                      // 000000005784: 7F9E0280
	v_mov_b32_e32 v144, 0                                      // 000000005788: 7F200280
	v_mov_b32_e32 v145, 0                                      // 00000000578C: 7F220280
	v_mov_b32_e32 v146, 0                                      // 000000005790: 7F240280
	v_mov_b32_e32 v147, 0                                      // 000000005794: 7F260280
	v_mov_b32_e32 v148, 0                                      // 000000005798: 7F280280
	v_mov_b32_e32 v149, 0                                      // 00000000579C: 7F2A0280
	v_mov_b32_e32 v150, 0                                      // 0000000057A0: 7F2C0280
	v_mov_b32_e32 v151, 0                                      // 0000000057A4: 7F2E0280
	v_mov_b32_e32 v152, 0                                      // 0000000057A8: 7F300280
	v_mov_b32_e32 v153, 0                                      // 0000000057AC: 7F320280
	v_mov_b32_e32 v154, 0                                      // 0000000057B0: 7F340280
	v_mov_b32_e32 v155, 0                                      // 0000000057B4: 7F360280
	v_mov_b32_e32 v132, 0                                      // 0000000057B8: 7F080280
	v_mov_b32_e32 v133, 0                                      // 0000000057BC: 7F0A0280
	v_mov_b32_e32 v134, 0                                      // 0000000057C0: 7F0C0280
	v_mov_b32_e32 v135, 0                                      // 0000000057C4: 7F0E0280
	v_mov_b32_e32 v136, 0                                      // 0000000057C8: 7F100280
	v_mov_b32_e32 v137, 0                                      // 0000000057CC: 7F120280
	v_mov_b32_e32 v138, 0                                      // 0000000057D0: 7F140280
	v_mov_b32_e32 v139, 0                                      // 0000000057D4: 7F160280
	v_mov_b32_e32 v140, 0                                      // 0000000057D8: 7F180280
	v_mov_b32_e32 v141, 0                                      // 0000000057DC: 7F1A0280
	v_mov_b32_e32 v142, 0                                      // 0000000057E0: 7F1C0280
	v_mov_b32_e32 v143, 0                                      // 0000000057E4: 7F1E0280
	s_waitcnt lgkmcnt(0)                                       // 0000000057E8: BF8CC07F
	s_barrier                                                  // 0000000057EC: BF8A0000
	buffer_load_dword v32, v1, s[8:11], 0 idxen                // 0000000057F0: E0502000 80022001
	buffer_load_dword v33, v2, s[8:11], 0 idxen                // 0000000057F8: E0502000 80022102
	buffer_load_dword v34, v1, s[8:11], 0 idxen offset:128     // 000000005800: E0502080 80022201
	buffer_load_dword v35, v2, s[8:11], 0 idxen offset:128     // 000000005808: E0502080 80022302
	v_mov_b32_e32 v36, 0                                       // 000000005810: 7E480280
	s_mov_b64 exec, s[82:83]                                   // 000000005814: BEFE0152
	buffer_load_dword v36, v1, s[8:11], 0 idxen offset:256     // 000000005818: E0502100 80022401
	s_mov_b32 exec_lo, -1                                      // 000000005820: BEFE00C1
	s_mov_b32 exec_hi, -1                                      // 000000005824: BEFF00C1
	v_mov_b32_e32 v37, 0                                       // 000000005828: 7E4A0280
	s_mov_b64 exec, s[82:83]                                   // 00000000582C: BEFE0152
	buffer_load_dword v37, v2, s[8:11], 0 idxen offset:256     // 000000005830: E0502100 80022502
	s_mov_b32 exec_lo, -1                                      // 000000005838: BEFE00C1
	s_mov_b32 exec_hi, -1                                      // 00000000583C: BEFF00C1
	buffer_load_dword v44, v212, s[20:23], 0 idxen             // 000000005840: E0502000 80052CD4
	buffer_load_dword v45, v213, s[20:23], 0 idxen             // 000000005848: E0502000 80052DD5
	buffer_load_dword v46, v212, s[20:23], 0 idxen offset:128  // 000000005850: E0502080 80052ED4
	buffer_load_dword v47, v213, s[20:23], 0 idxen offset:128  // 000000005858: E0502080 80052FD5
	v_mov_b32_e32 v48, 0                                       // 000000005860: 7E600280
	s_mov_b64 exec, s[82:83]                                   // 000000005864: BEFE0152
	buffer_load_dword v48, v212, s[20:23], 0 idxen offset:256  // 000000005868: E0502100 800530D4
	s_mov_b32 exec_lo, -1                                      // 000000005870: BEFE00C1
	s_mov_b32 exec_hi, -1                                      // 000000005874: BEFF00C1
	v_mov_b32_e32 v49, 0                                       // 000000005878: 7E620280
	s_mov_b64 exec, s[82:83]                                   // 00000000587C: BEFE0152
	buffer_load_dword v49, v213, s[20:23], 0 idxen offset:256  // 000000005880: E0502100 800531D5
	s_mov_b32 exec_lo, -1                                      // 000000005888: BEFE00C1
	s_mov_b32 exec_hi, -1                                      // 00000000588C: BEFF00C1
	buffer_load_dword v9, s[24:27], 0 idxen lds                // 000000005890: E0512000 80060009
	s_mov_b32 m0, s81                                          // 000000005898: BEFC0051
	v_add_u32_e32 v9, s69, v9                                  // 00000000589C: 68121245
	v_add_u32_e32 v1, s68, v1                                  // 0000000058A0: 68020244
	v_add_u32_e32 v2, s68, v2                                  // 0000000058A4: 68040444
	v_add_u32_e32 v212, s100, v212                             // 0000000058A8: 69A9A864
	v_add_u32_e32 v213, s100, v213                             // 0000000058AC: 69ABAA64
	v_mul_f32_e32 v128, s48, v128                              // 0000000058B0: 0B010030
	v_perm_b32 v68, v39, v38, s63                              // 0000000058B4: D1ED0044 00FE4D27
	v_perm_b32 v69, v39, v38, s64                              // 0000000058BC: D1ED0045 01024D27
	v_perm_b32 v70, v41, v40, s63                              // 0000000058C4: D1ED0046 00FE5129
	v_perm_b32 v71, v41, v40, s64                              // 0000000058CC: D1ED0047 01025129
	v_perm_b32 v72, v43, v42, s63                              // 0000000058D4: D1ED0048 00FE552B
	v_perm_b32 v73, v43, v42, s64                              // 0000000058DC: D1ED0049 0102552B
	v_perm_b32 v74, v51, v50, s63                              // 0000000058E4: D1ED004A 00FE6533
	v_perm_b32 v75, v51, v50, s64                              // 0000000058EC: D1ED004B 01026533
	v_perm_b32 v76, v53, v52, s63                              // 0000000058F4: D1ED004C 00FE6935
	v_perm_b32 v77, v53, v52, s64                              // 0000000058FC: D1ED004D 01026935
	v_perm_b32 v78, v55, v54, s63                              // 000000005904: D1ED004E 00FE6D37
	v_perm_b32 v79, v55, v54, s64                              // 00000000590C: D1ED004F 01026D37
	v_mov_b32_dpp v131, v128 quad_perm:[3,3,3,3] row_mask:0xf bank_mask:0xf// 000000005914: 7F0602FA FF00FF80
	v_mov_b32_dpp v130, v128 quad_perm:[2,2,2,2] row_mask:0xf bank_mask:0xf// 00000000591C: 7F0402FA FF00AA80
	v_mov_b32_dpp v129, v128 quad_perm:[1,1,1,1] row_mask:0xf bank_mask:0xf// 000000005924: 7F0202FA FF005580
	v_mov_b32_dpp v128, v128 quad_perm:[0,0,0,0] row_mask:0xf bank_mask:0xf// 00000000592C: 7F0002FA FF000080
	s_waitcnt vmcnt(13)                                        // 000000005934: BF8C0F7D
	s_barrier                                                  // 000000005938: BF8A0000
	s_cmp_lt_i32 s46, 2                                        // 00000000593C: BF04822E
	s_cbranch_scc0 label_0AD5                                  // 000000005940: BF840484
	s_nop 0                                                    // 000000005944: BF800000
	s_nop 0                                                    // 000000005948: BF800000

000000000000594c <label_0653>:
	s_waitcnt lgkmcnt(0)                                       // 00000000594C: BF8CC07F
	s_barrier                                                  // 000000005950: BF8A0000
	v_mfma_f32_16x16x16_bf16 v[56:59], a[72:73], a[0:1], 0     // 000000005954: D3E10038 1A020148
	ds_write_b32 v11, v50 offset:13056                         // 00000000595C: D81A3300 0000320B
	ds_write_b32 v11, v51 offset:14112                         // 000000005964: D81A3720 0000330B
	ds_write_b32 v11, v52 offset:15232                         // 00000000596C: D81A3B80 0000340B
	v_mfma_f32_16x16x16_bf16 v[56:59], a[74:75], a[2:3], v[56:59]// 000000005974: D3E10038 1CE2054A
	v_mul_f32_e32 v132, s47, v132                              // 00000000597C: 0B09082F
	v_mul_f32_e32 v133, s47, v133                              // 000000005980: 0B0B0A2F
	v_mul_f32_e32 v134, s47, v134                              // 000000005984: 0B0D0C2F
	v_mul_f32_e32 v135, s47, v135                              // 000000005988: 0B0F0E2F
	v_mfma_f32_16x16x16_bf16 v[56:59], a[76:77], a[4:5], v[56:59]// 00000000598C: D3E10038 1CE2094C
	ds_write_b32 v11, v53 offset:16288                         // 000000005994: D81A3FA0 0000350B
	ds_write_b32 v11, v54 offset:17408                         // 00000000599C: D81A4400 0000360B
	ds_write_b32 v11, v55 offset:18464                         // 0000000059A4: D81A4820 0000370B
	v_mfma_f32_16x16x16_bf16 v[56:59], a[78:79], a[6:7], v[56:59]// 0000000059AC: D3E10038 1CE20D4E
	v_mul_f32_e32 v136, s47, v136                              // 0000000059B4: 0B11102F
	v_mul_f32_e32 v137, s47, v137                              // 0000000059B8: 0B13122F
	v_mul_f32_e32 v138, s47, v138                              // 0000000059BC: 0B15142F
	v_mul_f32_e32 v139, s47, v139                              // 0000000059C0: 0B17162F
	v_mfma_f32_16x16x16_bf16 v[56:59], a[80:81], a[8:9], v[56:59]// 0000000059C4: D3E10038 1CE21150
	ds_write_b64 v20, v[132:133] offset:28416                  // 0000000059CC: D89A6F00 00008414
	ds_write_b64 v20, v[134:135] offset:28928                  // 0000000059D4: D89A7100 00008614
	v_mfma_f32_16x16x16_bf16 v[56:59], a[82:83], a[10:11], v[56:59]// 0000000059DC: D3E10038 1CE21552
	v_mul_f32_e32 v140, s47, v140                              // 0000000059E4: 0B19182F
	v_mul_f32_e32 v141, s47, v141                              // 0000000059E8: 0B1B1A2F
	v_mul_f32_e32 v142, s47, v142                              // 0000000059EC: 0B1D1C2F
	v_mul_f32_e32 v143, s47, v143                              // 0000000059F0: 0B1F1E2F
	v_mfma_f32_16x16x16_bf16 v[56:59], a[84:85], a[12:13], v[56:59]// 0000000059F4: D3E10038 1CE21954
	ds_write_b64 v20, v[136:137] offset:29440                  // 0000000059FC: D89A7300 00008814
	ds_write_b64 v20, v[138:139] offset:29952                  // 000000005A04: D89A7500 00008A14
	v_mfma_f32_16x16x16_bf16 v[56:59], a[86:87], a[14:15], v[56:59]// 000000005A0C: D3E10038 1CE21D56
	ds_write_b64 v20, v[140:141] offset:30464                  // 000000005A14: D89A7700 00008C14
	ds_write_b64 v20, v[142:143] offset:30976                  // 000000005A1C: D89A7900 00008E14
	v_mfma_f32_16x16x16_bf16 v[56:59], a[88:89], a[16:17], v[56:59]// 000000005A24: D3E10038 1CE22158
	ds_read_b128 v[104:107], v12 offset:19584                  // 000000005A2C: D9FE4C80 6800000C
	v_mfma_f32_16x16x16_bf16 v[56:59], a[90:91], a[18:19], v[56:59]// 000000005A34: D3E10038 1CE2255A
	ds_read_b128 v[108:111], v12 offset:20096                  // 000000005A3C: D9FE4E80 6C00000C
	v_mfma_f32_16x16x16_bf16 v[56:59], a[92:93], a[20:21], v[56:59]// 000000005A44: D3E10038 1CE2295C
	ds_read_b128 v[112:115], v12 offset:21760                  // 000000005A4C: D9FE5500 7000000C
	ds_read_b128 v[116:119], v12 offset:22272                  // 000000005A54: D9FE5700 7400000C
	v_mfma_f32_16x16x16_bf16 v[56:59], a[94:95], a[22:23], v[56:59]// 000000005A5C: D3E10038 1CE22D5E
	ds_read_b128 v[120:123], v12 offset:23936                  // 000000005A64: D9FE5D80 7800000C
	ds_read_b128 v[124:127], v12 offset:24448                  // 000000005A6C: D9FE5F80 7C00000C
	s_cmp_lt_i32 s74, 4                                        // 000000005A74: BF04844A
	s_cbranch_scc0 label_06C9                                  // 000000005A78: BF84002A
	s_mov_b32 s60, 0xffe0fffe                                  // 000000005A7C: BEBC00FF FFE0FFFE
	s_mov_b32 s61, 0xe000fe00                                  // 000000005A84: BEBD00FF E000FE00
	s_nop 0                                                    // 000000005A8C: BF800000
	s_cmp_lt_i32 s74, s46                                      // 000000005A90: BF042E4A
	s_cbranch_scc1 label_06C4                                  // 000000005A94: BF85001E
	s_cmp_eq_i32 s74, s46                                      // 000000005A98: BF002E4A
	s_cbranch_scc1 label_06A9                                  // 000000005A9C: BF850001
	s_branch label_06C9                                        // 000000005AA0: BF820020

0000000000005aa4 <label_06A9>:
	v_cndmask_b32_e64 v56, v56, v159, s[60:61]                 // 000000005AA4: D1000038 00F33F38
	s_lshl_b32 s60, s60, 1                                     // 000000005AAC: 8E3C813C
	s_lshl_b32 s61, s61, 1                                     // 000000005AB0: 8E3D813D
	s_and_b32 s60, 0xfffeffff, s60                             // 000000005AB4: 863C3CFF FFFEFFFF
	s_and_b32 s61, 0xfffeffff, s61                             // 000000005ABC: 863D3DFF FFFEFFFF
	v_cndmask_b32_e64 v57, v57, v159, s[60:61]                 // 000000005AC4: D1000039 00F33F39
	s_lshl_b32 s60, s60, 1                                     // 000000005ACC: 8E3C813C
	s_lshl_b32 s61, s61, 1                                     // 000000005AD0: 8E3D813D
	s_and_b32 s60, 0xfffeffff, s60                             // 000000005AD4: 863C3CFF FFFEFFFF
	s_and_b32 s61, 0xfffeffff, s61                             // 000000005ADC: 863D3DFF FFFEFFFF
	v_cndmask_b32_e64 v58, v58, v159, s[60:61]                 // 000000005AE4: D100003A 00F33F3A
	s_lshl_b32 s60, s60, 1                                     // 000000005AEC: 8E3C813C
	s_lshl_b32 s61, s61, 1                                     // 000000005AF0: 8E3D813D
	s_and_b32 s60, 0xfffeffff, s60                             // 000000005AF4: 863C3CFF FFFEFFFF
	s_and_b32 s61, 0xfffeffff, s61                             // 000000005AFC: 863D3DFF FFFEFFFF
	v_cndmask_b32_e64 v59, v59, v159, s[60:61]                 // 000000005B04: D100003B 00F33F3B
	s_branch label_06C9                                        // 000000005B0C: BF820005

0000000000005b10 <label_06C4>:
	v_mov_b32_e32 v56, v159                                    // 000000005B10: 7E70039F
	v_mov_b32_e32 v57, v159                                    // 000000005B14: 7E72039F
	v_mov_b32_e32 v58, v159                                    // 000000005B18: 7E74039F
	v_mov_b32_e32 v59, v159                                    // 000000005B1C: 7E76039F
	s_branch label_06C9                                        // 000000005B20: BF820000

0000000000005b24 <label_06C9>:
	s_cmp_lt_i32 s84, 64                                       // 000000005B24: BF04C054
	s_cbranch_scc0 label_06DA                                  // 000000005B28: BF84000F
	v_and_b32_e32 v28, 15, v0                                  // 000000005B2C: 2638008F
	v_mul_i32_i24_e64 v29, s46, 16                             // 000000005B30: D106001D 0001202E
	v_add_u32_e32 v28, v28, v29                                // 000000005B38: 68383B1C
	v_cmp_lt_u32_e64 s[60:61], v28, s84                        // 000000005B3C: D0C9003C 0000A91C
	s_nop 1                                                    // 000000005B44: BF800001
	v_cndmask_b32_e64 v56, v159, v56, s[60:61]                 // 000000005B48: D1000038 00F2719F
	v_cndmask_b32_e64 v57, v159, v57, s[60:61]                 // 000000005B50: D1000039 00F2739F
	v_cndmask_b32_e64 v58, v159, v58, s[60:61]                 // 000000005B58: D100003A 00F2759F
	v_cndmask_b32_e64 v59, v159, v59, s[60:61]                 // 000000005B60: D100003B 00F2779F

0000000000005b68 <label_06DA>:
	s_addk_i32 s74, 0x1                                        // 000000005B68: B74A0001
	s_waitcnt lgkmcnt(6)                                       // 000000005B6C: BF8CC67F
	s_barrier                                                  // 000000005B70: BF8A0000
	v_mfma_f32_16x16x16_bf16 v[64:67], v[80:81], a[48:49], 0   // 000000005B74: D3E10040 12026150
	ds_read_b128 a[72:75], v12 offset:6528                     // 000000005B7C: DBFE1980 4800000C
	ds_read_b128 a[76:79], v12 offset:7040                     // 000000005B84: DBFE1B80 4C00000C
	ds_write_b32 v11, v38                                      // 000000005B8C: D81A0000 0000260B
	ds_write_b32 v11, v39 offset:1056                          // 000000005B94: D81A0420 0000270B
	v_mfma_f32_16x16x16_bf16 v[64:67], v[82:83], a[50:51], v[64:67]// 000000005B9C: D3E10040 15026552
	v_fma_f32 v56, v56, s57, -v128                             // 000000005BA4: D1CB0038 86007338
	v_fma_f32 v57, v57, s57, -v129                             // 000000005BAC: D1CB0039 86047339
	v_fma_f32 v58, v58, s57, -v130                             // 000000005BB4: D1CB003A 8608733A
	v_fma_f32 v59, v59, s57, -v131                             // 000000005BBC: D1CB003B 860C733B
	v_mfma_f32_16x16x16_bf16 v[64:67], v[84:85], a[52:53], v[64:67]// 000000005BC4: D3E10040 15026954
	ds_read_b128 a[80:83], v12 offset:8704                     // 000000005BCC: DBFE2200 5000000C
	ds_read_b128 a[84:87], v12 offset:9216                     // 000000005BD4: DBFE2400 5400000C
	ds_write_b32 v11, v40 offset:2176                          // 000000005BDC: D81A0880 0000280B
	v_mfma_f32_16x16x16_bf16 v[64:67], v[86:87], a[54:55], v[64:67]// 000000005BE4: D3E10040 15026D56
	v_exp_f32_e32 v56, v56                                     // 000000005BEC: 7E704138
	v_mfma_f32_16x16x16_bf16 v[64:67], v[88:89], a[56:57], v[64:67]// 000000005BF0: D3E10040 15027158
	ds_read_b128 a[88:91], v12 offset:10880                    // 000000005BF8: DBFE2A80 5800000C
	ds_read_b128 a[92:95], v12 offset:11392                    // 000000005C00: DBFE2C80 5C00000C
	ds_write_b32 v11, v41 offset:3232                          // 000000005C08: D81A0CA0 0000290B
	v_mfma_f32_16x16x16_bf16 v[64:67], v[90:91], a[58:59], v[64:67]// 000000005C10: D3E10040 1502755A
	v_exp_f32_e32 v57, v57                                     // 000000005C18: 7E724139
	v_mfma_f32_16x16x16_bf16 v[64:67], v[92:93], a[60:61], v[64:67]// 000000005C1C: D3E10040 1502795C
	ds_read_b64 v[144:145], v19 offset:28416                   // 000000005C24: D8EC6F00 90000013
	ds_read_b64 v[146:147], v19 offset:30464                   // 000000005C2C: D8EC7700 92000013
	ds_read_b64 v[148:149], v19 offset:32512                   // 000000005C34: D8EC7F00 94000013
	ds_write_b32 v11, v42 offset:4352                          // 000000005C3C: D81A1100 00002A0B
	v_mfma_f32_16x16x16_bf16 v[64:67], v[94:95], a[62:63], v[64:67]// 000000005C44: D3E10040 15027D5E
	v_exp_f32_e32 v58, v58                                     // 000000005C4C: 7E74413A
	v_mfma_f32_16x16x16_bf16 v[64:67], v[96:97], a[64:65], v[64:67]// 000000005C50: D3E10040 15028160
	ds_read_b64 v[150:151], v19 offset:34560                   // 000000005C58: D8EC8700 96000013
	ds_read_b64 v[152:153], v19 offset:36608                   // 000000005C60: D8EC8F00 98000013
	ds_read_b64 v[154:155], v19 offset:38656                   // 000000005C68: D8EC9700 9A000013
	ds_write_b32 v11, v43 offset:5408                          // 000000005C70: D81A1520 00002B0B
	v_mfma_f32_16x16x16_bf16 v[64:67], v[98:99], a[66:67], v[64:67]// 000000005C78: D3E10040 15028562
	v_exp_f32_e32 v59, v59                                     // 000000005C80: 7E76413B
	v_mfma_f32_16x16x16_bf16 v[64:67], v[100:101], a[68:69], v[64:67]// 000000005C84: D3E10040 15028964
	v_cmp_u_f32_e64 s[78:79], v56, v56                         // 000000005C8C: D048004E 00027138
	v_bfe_u32 v208, v56, 16, 1                                 // 000000005C94: D1C800D0 02052138
	v_add3_u32 v208, v56, v208, v211                           // 000000005C9C: D1FF00D0 074FA138
	v_cndmask_b32_e64 v28, v208, v210, s[78:79]                // 000000005CA4: D100001C 013BA5D0
	v_lshrrev_b32_e32 v28, 16, v28                             // 000000005CAC: 20383890
	v_cmp_u_f32_e64 s[78:79], v57, v57                         // 000000005CB0: D048004E 00027339
	v_bfe_u32 v208, v57, 16, 1                                 // 000000005CB8: D1C800D0 02052139
	v_add3_u32 v208, v57, v208, v211                           // 000000005CC0: D1FF00D0 074FA139
	v_cndmask_b32_e64 v29, v208, v210, s[78:79]                // 000000005CC8: D100001D 013BA5D0
	v_and_or_b32 v156, v29, v209, v28                          // 000000005CD0: D201009C 0473A31D
	v_mfma_f32_16x16x16_bf16 v[64:67], v[102:103], a[70:71], v[64:67]// 000000005CD8: D3E10040 15028D66
	v_cmp_u_f32_e64 s[78:79], v58, v58                         // 000000005CE0: D048004E 0002753A
	v_bfe_u32 v208, v58, 16, 1                                 // 000000005CE8: D1C800D0 0205213A
	v_add3_u32 v208, v58, v208, v211                           // 000000005CF0: D1FF00D0 074FA13A
	v_cndmask_b32_e64 v28, v208, v210, s[78:79]                // 000000005CF8: D100001C 013BA5D0
	v_lshrrev_b32_e32 v28, 16, v28                             // 000000005D00: 20383890
	v_cmp_u_f32_e64 s[78:79], v59, v59                         // 000000005D04: D048004E 0002773B
	v_bfe_u32 v208, v59, 16, 1                                 // 000000005D0C: D1C800D0 0205213B
	v_add3_u32 v208, v59, v208, v211                           // 000000005D14: D1FF00D0 074FA13B
	v_cndmask_b32_e64 v29, v208, v210, s[78:79]                // 000000005D1C: D100001D 013BA5D0
	v_and_or_b32 v157, v29, v209, v28                          // 000000005D24: D201009D 0473A31D
	v_add_u32_e32 v7, s66, v7                                  // 000000005D2C: 680E0E42
	v_add_u32_e32 v8, s66, v8                                  // 000000005D30: 68101042
	s_waitcnt lgkmcnt(0)                                       // 000000005D34: BF8CC07F
	s_barrier                                                  // 000000005D38: BF8A0000
	v_mfma_f32_16x16x16_bf16 v[160:163], v[104:105], v[156:157], v[160:163]// 000000005D3C: D3E100A0 06833968
	v_subrev_f32_dpp v64, v158, v64 quad_perm:[0,0,0,0] row_mask:0xf bank_mask:0xf// 000000005D44: 068080FA FF00009E
	v_subrev_f32_dpp v65, v158, v65 quad_perm:[1,1,1,1] row_mask:0xf bank_mask:0xf// 000000005D4C: 068282FA FF00559E
	buffer_atomic_add_f32 v144, v7, s[32:35], 0 offen          // 000000005D54: E1341000 80089007
	v_mfma_f32_16x16x16_bf16 v[164:167], v[106:107], v[156:157], v[164:167]// 000000005D5C: D3E100A4 0693396A
	v_subrev_f32_dpp v66, v158, v66 quad_perm:[2,2,2,2] row_mask:0xf bank_mask:0xf// 000000005D64: 068484FA FF00AA9E
	v_subrev_f32_dpp v67, v158, v67 quad_perm:[3,3,3,3] row_mask:0xf bank_mask:0xf// 000000005D6C: 068686FA FF00FF9E
	buffer_atomic_add_f32 v145, v8, s[32:35], 0 offen          // 000000005D74: E1341000 80089108
	v_mfma_f32_16x16x16_bf16 v[168:171], v[108:109], v[156:157], v[168:171]// 000000005D7C: D3E100A8 06A3396C
	v_mul_f32_e32 v64, v56, v64                                // 000000005D84: 0A808138
	v_mul_f32_e32 v65, v57, v65                                // 000000005D88: 0A828339
	buffer_atomic_add_f32 v146, v7, s[32:35], 0 offen offset:128// 000000005D8C: E1341080 80089207
	v_mfma_f32_16x16x16_bf16 v[172:175], v[110:111], v[156:157], v[172:175]// 000000005D94: D3E100AC 06B3396E
	v_mul_f32_e32 v66, v58, v66                                // 000000005D9C: 0A84853A
	v_mul_f32_e32 v67, v59, v67                                // 000000005DA0: 0A86873B
	buffer_atomic_add_f32 v147, v8, s[32:35], 0 offen offset:128// 000000005DA4: E1341080 80089308
	v_mfma_f32_16x16x16_bf16 v[176:179], v[112:113], v[156:157], v[176:179]// 000000005DAC: D3E100B0 06C33970
	v_cmp_u_f32_e64 s[78:79], v64, v64                         // 000000005DB4: D048004E 00028140
	v_bfe_u32 v208, v64, 16, 1                                 // 000000005DBC: D1C800D0 02052140
	v_add3_u32 v208, v64, v208, v211                           // 000000005DC4: D1FF00D0 074FA140
	v_cndmask_b32_e64 v28, v208, v210, s[78:79]                // 000000005DCC: D100001C 013BA5D0
	v_lshrrev_b32_e32 v28, 16, v28                             // 000000005DD4: 20383890
	v_cmp_u_f32_e64 s[78:79], v65, v65                         // 000000005DD8: D048004E 00028341
	v_bfe_u32 v208, v65, 16, 1                                 // 000000005DE0: D1C800D0 02052141
	v_add3_u32 v208, v65, v208, v211                           // 000000005DE8: D1FF00D0 074FA141
	v_cndmask_b32_e64 v29, v208, v210, s[78:79]                // 000000005DF0: D100001D 013BA5D0
	v_and_or_b32 v64, v29, v209, v28                           // 000000005DF8: D2010040 0473A31D
	v_mfma_f32_16x16x16_bf16 v[180:183], v[114:115], v[156:157], v[180:183]// 000000005E00: D3E100B4 06D33972
	v_cmp_u_f32_e64 s[78:79], v66, v66                         // 000000005E08: D048004E 00028542
	v_bfe_u32 v208, v66, 16, 1                                 // 000000005E10: D1C800D0 02052142
	v_add3_u32 v208, v66, v208, v211                           // 000000005E18: D1FF00D0 074FA142
	v_cndmask_b32_e64 v28, v208, v210, s[78:79]                // 000000005E20: D100001C 013BA5D0
	v_lshrrev_b32_e32 v28, 16, v28                             // 000000005E28: 20383890
	v_cmp_u_f32_e64 s[78:79], v67, v67                         // 000000005E2C: D048004E 00028743
	v_bfe_u32 v208, v67, 16, 1                                 // 000000005E34: D1C800D0 02052143
	v_add3_u32 v208, v67, v208, v211                           // 000000005E3C: D1FF00D0 074FA143
	v_cndmask_b32_e64 v29, v208, v210, s[78:79]                // 000000005E44: D100001D 013BA5D0
	v_and_or_b32 v65, v29, v209, v28                           // 000000005E4C: D2010041 0473A31D
	v_mfma_f32_16x16x16_bf16 v[184:187], v[116:117], v[156:157], v[184:187]// 000000005E54: D3E100B8 06E33974
	v_mov_b32_dpp v16, v64 quad_perm:[1,0,3,2] row_mask:0xf bank_mask:0xf// 000000005E5C: 7E2002FA FF00B140
	v_perm_b32 v56, v16, v64, v15                              // 000000005E64: D1ED0038 043E8110
	buffer_atomic_add_f32 v148, v7, s[32:35], 0 offen offset:256// 000000005E6C: E1341100 80089407
	v_mfma_f32_16x16x16_bf16 v[188:191], v[118:119], v[156:157], v[188:191]// 000000005E74: D3E100BC 06F33976
	v_mov_b32_dpp v16, v65 quad_perm:[1,0,3,2] row_mask:0xf bank_mask:0xf// 000000005E7C: 7E2002FA FF00B141
	v_perm_b32 v57, v16, v65, v15                              // 000000005E84: D1ED0039 043E8310
	buffer_atomic_add_f32 v149, v8, s[32:35], 0 offen offset:256// 000000005E8C: E1341100 80089508
	v_mfma_f32_16x16x16_bf16 v[192:195], v[120:121], v[156:157], v[192:195]// 000000005E94: D3E100C0 07033978
	ds_write_b32 v13, v68 offset:6528                          // 000000005E9C: D81A1980 0000440D
	ds_write_b32 v13, v69 offset:7584                          // 000000005EA4: D81A1DA0 0000450D
	v_mfma_f32_16x16x16_bf16 v[196:199], v[122:123], v[156:157], v[196:199]// 000000005EAC: D3E100C4 0713397A
	ds_write_b32 v18, v56 offset:26112                         // 000000005EB4: D81A6600 00003812
	ds_write_b32 v18, v57 offset:26656                         // 000000005EBC: D81A6820 00003912
	v_mfma_f32_16x16x16_bf16 v[200:203], v[124:125], v[156:157], v[200:203]// 000000005EC4: D3E100C8 0723397C
	ds_write_b32 v13, v70 offset:8704                          // 000000005ECC: D81A2200 0000460D
	ds_write_b32 v13, v71 offset:9760                          // 000000005ED4: D81A2620 0000470D
	v_mfma_f32_16x16x16_bf16 v[204:207], v[126:127], v[156:157], v[204:207]// 000000005EDC: D3E100CC 0733397E
	ds_write_b32 v13, v72 offset:10880                         // 000000005EE4: D81A2A80 0000480D
	ds_write_b32 v13, v73 offset:11936                         // 000000005EEC: D81A2EA0 0000490D
	s_barrier                                                  // 000000005EF4: BF8A0000
	v_mfma_f32_16x16x16_bf16 a[96:99], a[72:73], v[64:65], a[96:99]// 000000005EF8: D3E18060 0D828148
	buffer_atomic_add_f32 v150, v7, s[32:35], 0 offen offset:384// 000000005F00: E1341180 80089607
	buffer_atomic_add_f32 v151, v8, s[32:35], 0 offen offset:384// 000000005F08: E1341180 80089708
	v_mfma_f32_16x16x16_bf16 a[100:103], a[74:75], v[64:65], a[100:103]// 000000005F10: D3E18064 0D92814A
	ds_read_b32 v128, v21 offset:41216                         // 000000005F18: D86CA100 80000015
	ds_read_b32 v158, v21 offset:41472                         // 000000005F20: D86CA200 9E000015
	v_mfma_f32_16x16x16_bf16 a[104:107], a[76:77], v[64:65], a[104:107]// 000000005F28: D3E18068 0DA2814C
	s_waitcnt lgkmcnt(6)                                       // 000000005F30: BF8CC67F
	s_barrier                                                  // 000000005F34: BF8A0000
	v_mfma_f32_16x16x16_bf16 a[108:111], a[78:79], v[64:65], a[108:111]// 000000005F38: D3E1806C 0DB2814E
	ds_read_b128 v[56:59], v17 offset:26112                    // 000000005F40: D9FE6600 38000011
	v_mfma_f32_16x16x16_bf16 a[112:115], a[80:81], v[64:65], a[112:115]// 000000005F48: D3E18070 0DC28150
	s_mov_b64 exec, s[44:45]                                   // 000000005F50: BEFE012C
	buffer_atomic_add_f32 v152, v7, s[32:35], 0 offen offset:512// 000000005F54: E1341200 80089807
	s_mov_b32 exec_lo, -1                                      // 000000005F5C: BEFE00C1
	s_mov_b32 exec_hi, -1                                      // 000000005F60: BEFF00C1
	v_mfma_f32_16x16x16_bf16 a[116:119], a[82:83], v[64:65], a[116:119]// 000000005F64: D3E18074 0DD28152
	ds_read_b128 v[60:63], v17 offset:27264                    // 000000005F6C: D9FE6A80 3C000011
	v_mfma_f32_16x16x16_bf16 a[120:123], a[84:85], v[64:65], a[120:123]// 000000005F74: D3E18078 0DE28154
	s_mov_b64 exec, s[44:45]                                   // 000000005F7C: BEFE012C
	buffer_atomic_add_f32 v153, v8, s[32:35], 0 offen offset:512// 000000005F80: E1341200 80089908
	s_mov_b32 exec_lo, -1                                      // 000000005F88: BEFE00C1
	s_mov_b32 exec_hi, -1                                      // 000000005F8C: BEFF00C1
	v_mfma_f32_16x16x16_bf16 a[124:127], a[86:87], v[64:65], a[124:127]// 000000005F90: D3E1807C 0DF28156
	ds_write_b32 v13, v74 offset:19584                         // 000000005F98: D81A4C80 00004A0D
	ds_write_b32 v13, v75 offset:20640                         // 000000005FA0: D81A50A0 00004B0D
	v_mfma_f32_16x16x16_bf16 a[128:131], a[88:89], v[64:65], a[128:131]// 000000005FA8: D3E18080 0E028158
	s_mov_b64 exec, s[92:93]                                   // 000000005FB0: BEFE015C
	buffer_atomic_add_f32 v154, v7, s[32:35], 0 offen offset:640// 000000005FB4: E1341280 80089A07
	s_mov_b32 exec_lo, -1                                      // 000000005FBC: BEFE00C1
	s_mov_b32 exec_hi, -1                                      // 000000005FC0: BEFF00C1
	v_mfma_f32_16x16x16_bf16 a[132:135], a[90:91], v[64:65], a[132:135]// 000000005FC4: D3E18084 0E12815A
	ds_write_b32 v13, v76 offset:21760                         // 000000005FCC: D81A5500 00004C0D
	ds_write_b32 v13, v77 offset:22816                         // 000000005FD4: D81A5920 00004D0D
	v_mfma_f32_16x16x16_bf16 a[136:139], a[92:93], v[64:65], a[136:139]// 000000005FDC: D3E18088 0E22815C
	s_mov_b64 exec, s[92:93]                                   // 000000005FE4: BEFE015C
	buffer_atomic_add_f32 v155, v8, s[32:35], 0 offen offset:640// 000000005FE8: E1341280 80089B08
	s_mov_b32 exec_lo, -1                                      // 000000005FF0: BEFE00C1
	s_mov_b32 exec_hi, -1                                      // 000000005FF4: BEFF00C1
	v_mfma_f32_16x16x16_bf16 a[140:143], a[94:95], v[64:65], a[140:143]// 000000005FF8: D3E1808C 0E32815E
	ds_write_b32 v13, v78 offset:23936                         // 000000006000: D81A5D80 00004E0D
	ds_write_b32 v13, v79 offset:24992                         // 000000006008: D81A61A0 00004F0D
	s_waitcnt vmcnt(12) lgkmcnt(6)                             // 000000006010: BF8C067C
	s_barrier                                                  // 000000006014: BF8A0000
	v_mfma_f32_16x16x16_bf16 v[132:135], v[56:57], a[24:25], 0 // 000000006018: D3E10084 12023138
	v_mul_f32_e32 v128, s48, v128                              // 000000006020: 0B010030
	v_perm_b32 v68, v33, v32, s63                              // 000000006024: D1ED0044 00FE4121
	v_perm_b32 v69, v33, v32, s64                              // 00000000602C: D1ED0045 01024121
	v_perm_b32 v70, v35, v34, s63                              // 000000006034: D1ED0046 00FE4523
	v_mfma_f32_16x16x16_bf16 v[132:135], v[58:59], a[30:31], v[132:135]// 00000000603C: D3E10084 16123D3A
	ds_read_b128 a[72:75], v10                                 // 000000006044: DBFE0000 4800000A
	ds_read_b128 a[76:79], v10 offset:512                      // 00000000604C: DBFE0200 4C00000A
	ds_read_b128 a[80:83], v10 offset:2176                     // 000000006054: DBFE0880 5000000A
	buffer_load_dword v38, v1, s[8:11], 0 idxen                // 00000000605C: E0502000 80022601
	buffer_load_dword v39, v2, s[8:11], 0 idxen                // 000000006064: E0502000 80022702
	v_mfma_f32_16x16x16_bf16 v[132:135], v[60:61], a[36:37], v[132:135]// 00000000606C: D3E10084 1612493C
	v_perm_b32 v71, v35, v34, s64                              // 000000006074: D1ED0047 01024523
	v_perm_b32 v72, v37, v36, s63                              // 00000000607C: D1ED0048 00FE4925
	v_perm_b32 v73, v37, v36, s64                              // 000000006084: D1ED0049 01024925
	v_mfma_f32_16x16x16_bf16 v[132:135], v[62:63], a[42:43], v[132:135]// 00000000608C: D3E10084 1612553E
	ds_read_b128 a[84:87], v10 offset:2688                     // 000000006094: DBFE0A80 5400000A
	ds_read_b128 a[88:91], v10 offset:4352                     // 00000000609C: DBFE1100 5800000A
	ds_read_b128 a[92:95], v10 offset:4864                     // 0000000060A4: DBFE1300 5C00000A
	buffer_load_dword v40, v1, s[8:11], 0 idxen offset:128     // 0000000060AC: E0502080 80022801
	buffer_load_dword v41, v2, s[8:11], 0 idxen offset:128     // 0000000060B4: E0502080 80022902
	v_mfma_f32_16x16x16_bf16 v[136:139], v[56:57], a[26:27], 0 // 0000000060BC: D3E10088 12023538
	v_perm_b32 v74, v45, v44, s63                              // 0000000060C4: D1ED004A 00FE592D
	v_perm_b32 v75, v45, v44, s64                              // 0000000060CC: D1ED004B 0102592D
	v_perm_b32 v76, v47, v46, s63                              // 0000000060D4: D1ED004C 00FE5D2F
	v_mov_b32_dpp v131, v128 quad_perm:[3,3,3,3] row_mask:0xf bank_mask:0xf// 0000000060DC: 7F0602FA FF00FF80
	v_mov_b32_dpp v130, v128 quad_perm:[2,2,2,2] row_mask:0xf bank_mask:0xf// 0000000060E4: 7F0402FA FF00AA80
	v_mfma_f32_16x16x16_bf16 v[136:139], v[58:59], a[32:33], v[136:139]// 0000000060EC: D3E10088 1622413A
	ds_read_b128 v[80:83], v10 offset:13056                    // 0000000060F4: D9FE3300 5000000A
	ds_read_b128 v[84:87], v10 offset:13568                    // 0000000060FC: D9FE3500 5400000A
	ds_read_b128 v[88:91], v10 offset:15232                    // 000000006104: D9FE3B80 5800000A
	buffer_load_dword v50, v212, s[20:23], 0 idxen             // 00000000610C: E0502000 800532D4
	buffer_load_dword v51, v213, s[20:23], 0 idxen             // 000000006114: E0502000 800533D5
	v_mfma_f32_16x16x16_bf16 v[136:139], v[60:61], a[38:39], v[136:139]// 00000000611C: D3E10088 16224D3C
	v_perm_b32 v77, v47, v46, s64                              // 000000006124: D1ED004D 01025D2F
	v_perm_b32 v78, v49, v48, s63                              // 00000000612C: D1ED004E 00FE6131
	v_perm_b32 v79, v49, v48, s64                              // 000000006134: D1ED004F 01026131
	v_mov_b32_dpp v129, v128 quad_perm:[1,1,1,1] row_mask:0xf bank_mask:0xf// 00000000613C: 7F0202FA FF005580
	v_mov_b32_dpp v128, v128 quad_perm:[0,0,0,0] row_mask:0xf bank_mask:0xf// 000000006144: 7F0002FA FF000080
	v_mfma_f32_16x16x16_bf16 v[136:139], v[62:63], a[44:45], v[136:139]// 00000000614C: D3E10088 1622593E
	ds_read_b128 v[92:95], v10 offset:15744                    // 000000006154: D9FE3D80 5C00000A
	ds_read_b128 v[96:99], v10 offset:17408                    // 00000000615C: D9FE4400 6000000A
	ds_read_b128 v[100:103], v10 offset:17920                  // 000000006164: D9FE4600 6400000A
	buffer_load_dword v52, v212, s[20:23], 0 idxen offset:128  // 00000000616C: E0502080 800534D4
	buffer_load_dword v53, v213, s[20:23], 0 idxen offset:128  // 000000006174: E0502080 800535D5
	v_mfma_f32_16x16x16_bf16 v[140:143], v[56:57], a[28:29], 0 // 00000000617C: D3E1008C 12023938
	s_add_u32 s60, 64, s59                                     // 000000006184: 803C3BC0
	s_cmp_lt_u32 s60, s58                                      // 000000006188: BF0A3A3C
	s_cselect_b32 s68, s68, 0                                  // 00000000618C: 85448044
	s_cselect_b32 s100, s100, 0                                // 000000006190: 85648064
	s_cselect_b32 s69, s69, 0                                  // 000000006194: 85458045
	v_mfma_f32_16x16x16_bf16 v[140:143], v[58:59], a[34:35], v[140:143]// 000000006198: D3E1008C 1632453A
	buffer_load_dword v9, s[24:27], 0 idxen lds                // 0000000061A0: E0512000 80060009
	v_mov_b32_e32 v42, 0                                       // 0000000061A8: 7E540280
	s_mov_b64 exec, s[82:83]                                   // 0000000061AC: BEFE0152
	buffer_load_dword v42, v1, s[8:11], 0 idxen offset:256     // 0000000061B0: E0502100 80022A01
	s_mov_b32 exec_lo, -1                                      // 0000000061B8: BEFE00C1
	s_mov_b32 exec_hi, -1                                      // 0000000061BC: BEFF00C1
	v_mov_b32_e32 v43, 0                                       // 0000000061C0: 7E560280
	s_mov_b64 exec, s[82:83]                                   // 0000000061C4: BEFE0152
	buffer_load_dword v43, v2, s[8:11], 0 idxen offset:256     // 0000000061C8: E0502100 80022B02
	s_mov_b32 exec_lo, -1                                      // 0000000061D0: BEFE00C1
	s_mov_b32 exec_hi, -1                                      // 0000000061D4: BEFF00C1
	v_mfma_f32_16x16x16_bf16 v[140:143], v[60:61], a[40:41], v[140:143]// 0000000061D8: D3E1008C 1632513C
	v_mov_b32_e32 v54, 0                                       // 0000000061E0: 7E6C0280
	s_mov_b64 exec, s[82:83]                                   // 0000000061E4: BEFE0152
	buffer_load_dword v54, v212, s[20:23], 0 idxen offset:256  // 0000000061E8: E0502100 800536D4
	s_mov_b32 exec_lo, -1                                      // 0000000061F0: BEFE00C1
	s_mov_b32 exec_hi, -1                                      // 0000000061F4: BEFF00C1
	v_mov_b32_e32 v55, 0                                       // 0000000061F8: 7E6E0280
	s_mov_b64 exec, s[82:83]                                   // 0000000061FC: BEFE0152
	buffer_load_dword v55, v213, s[20:23], 0 idxen offset:256  // 000000006200: E0502100 800537D5
	s_mov_b32 exec_lo, -1                                      // 000000006208: BEFE00C1
	s_mov_b32 exec_hi, -1                                      // 00000000620C: BEFF00C1
	v_add_u32_e32 v1, s68, v1                                  // 000000006210: 68020244
	v_add_u32_e32 v2, s68, v2                                  // 000000006214: 68040444
	v_add_u32_e32 v212, s100, v212                             // 000000006218: 69A9A864
	v_add_u32_e32 v213, s100, v213                             // 00000000621C: 69ABAA64
	s_mov_b32 m0, s80                                          // 000000006220: BEFC0050
	v_add_u32_e32 v9, s69, v9                                  // 000000006224: 68121245
	v_mfma_f32_16x16x16_bf16 v[140:143], v[62:63], a[46:47], v[140:143]// 000000006228: D3E1008C 16325D3E
	s_cmp_ge_u32 s59, s73                                      // 000000006230: BF09493B
	s_cselect_b32 s66, s67, s66                                // 000000006234: 85424243
	s_addk_i32 s59, 0x10                                       // 000000006238: B73B0010
	s_nop 0                                                    // 00000000623C: BF800000
	s_cmp_lt_i32 s59, s58                                      // 000000006240: BF043A3B
	s_cbranch_scc0 label_0AD2                                  // 000000006244: BF840240
	s_waitcnt lgkmcnt(0)                                       // 000000006248: BF8CC07F
	s_barrier                                                  // 00000000624C: BF8A0000
	v_mfma_f32_16x16x16_bf16 v[56:59], a[72:73], a[0:1], 0     // 000000006250: D3E10038 1A020148
	ds_write_b32 v11, v44 offset:13056                         // 000000006258: D81A3300 00002C0B
	ds_write_b32 v11, v45 offset:14112                         // 000000006260: D81A3720 00002D0B
	ds_write_b32 v11, v46 offset:15232                         // 000000006268: D81A3B80 00002E0B
	v_mfma_f32_16x16x16_bf16 v[56:59], a[74:75], a[2:3], v[56:59]// 000000006270: D3E10038 1CE2054A
	v_mul_f32_e32 v132, s47, v132                              // 000000006278: 0B09082F
	v_mul_f32_e32 v133, s47, v133                              // 00000000627C: 0B0B0A2F
	v_mul_f32_e32 v134, s47, v134                              // 000000006280: 0B0D0C2F
	v_mul_f32_e32 v135, s47, v135                              // 000000006284: 0B0F0E2F
	v_mfma_f32_16x16x16_bf16 v[56:59], a[76:77], a[4:5], v[56:59]// 000000006288: D3E10038 1CE2094C
	ds_write_b32 v11, v47 offset:16288                         // 000000006290: D81A3FA0 00002F0B
	ds_write_b32 v11, v48 offset:17408                         // 000000006298: D81A4400 0000300B
	ds_write_b32 v11, v49 offset:18464                         // 0000000062A0: D81A4820 0000310B
	v_mfma_f32_16x16x16_bf16 v[56:59], a[78:79], a[6:7], v[56:59]// 0000000062A8: D3E10038 1CE20D4E
	v_mul_f32_e32 v136, s47, v136                              // 0000000062B0: 0B11102F
	v_mul_f32_e32 v137, s47, v137                              // 0000000062B4: 0B13122F
	v_mul_f32_e32 v138, s47, v138                              // 0000000062B8: 0B15142F
	v_mul_f32_e32 v139, s47, v139                              // 0000000062BC: 0B17162F
	v_mfma_f32_16x16x16_bf16 v[56:59], a[80:81], a[8:9], v[56:59]// 0000000062C0: D3E10038 1CE21150
	ds_write_b64 v20, v[132:133] offset:28416                  // 0000000062C8: D89A6F00 00008414
	ds_write_b64 v20, v[134:135] offset:28928                  // 0000000062D0: D89A7100 00008614
	v_mfma_f32_16x16x16_bf16 v[56:59], a[82:83], a[10:11], v[56:59]// 0000000062D8: D3E10038 1CE21552
	v_mul_f32_e32 v140, s47, v140                              // 0000000062E0: 0B19182F
	v_mul_f32_e32 v141, s47, v141                              // 0000000062E4: 0B1B1A2F
	v_mul_f32_e32 v142, s47, v142                              // 0000000062E8: 0B1D1C2F
	v_mul_f32_e32 v143, s47, v143                              // 0000000062EC: 0B1F1E2F
	v_mfma_f32_16x16x16_bf16 v[56:59], a[84:85], a[12:13], v[56:59]// 0000000062F0: D3E10038 1CE21954
	ds_write_b64 v20, v[136:137] offset:29440                  // 0000000062F8: D89A7300 00008814
	ds_write_b64 v20, v[138:139] offset:29952                  // 000000006300: D89A7500 00008A14
	v_mfma_f32_16x16x16_bf16 v[56:59], a[86:87], a[14:15], v[56:59]// 000000006308: D3E10038 1CE21D56
	ds_write_b64 v20, v[140:141] offset:30464                  // 000000006310: D89A7700 00008C14
	ds_write_b64 v20, v[142:143] offset:30976                  // 000000006318: D89A7900 00008E14
	v_mfma_f32_16x16x16_bf16 v[56:59], a[88:89], a[16:17], v[56:59]// 000000006320: D3E10038 1CE22158
	ds_read_b128 v[104:107], v12 offset:19584                  // 000000006328: D9FE4C80 6800000C
	v_mfma_f32_16x16x16_bf16 v[56:59], a[90:91], a[18:19], v[56:59]// 000000006330: D3E10038 1CE2255A
	ds_read_b128 v[108:111], v12 offset:20096                  // 000000006338: D9FE4E80 6C00000C
	v_mfma_f32_16x16x16_bf16 v[56:59], a[92:93], a[20:21], v[56:59]// 000000006340: D3E10038 1CE2295C
	ds_read_b128 v[112:115], v12 offset:21760                  // 000000006348: D9FE5500 7000000C
	ds_read_b128 v[116:119], v12 offset:22272                  // 000000006350: D9FE5700 7400000C
	v_mfma_f32_16x16x16_bf16 v[56:59], a[94:95], a[22:23], v[56:59]// 000000006358: D3E10038 1CE22D5E
	ds_read_b128 v[120:123], v12 offset:23936                  // 000000006360: D9FE5D80 7800000C
	ds_read_b128 v[124:127], v12 offset:24448                  // 000000006368: D9FE5F80 7C00000C
	s_cmp_lt_i32 s74, 4                                        // 000000006370: BF04844A
	s_cbranch_scc0 label_0908                                  // 000000006374: BF84002A
	s_mov_b32 s60, 0xffe0fffe                                  // 000000006378: BEBC00FF FFE0FFFE
	s_mov_b32 s61, 0xe000fe00                                  // 000000006380: BEBD00FF E000FE00
	s_nop 0                                                    // 000000006388: BF800000
	s_cmp_lt_i32 s74, s46                                      // 00000000638C: BF042E4A
	s_cbranch_scc1 label_0903                                  // 000000006390: BF85001E
	s_cmp_eq_i32 s74, s46                                      // 000000006394: BF002E4A
	s_cbranch_scc1 label_08E8                                  // 000000006398: BF850001
	s_branch label_0908                                        // 00000000639C: BF820020

00000000000063a0 <label_08E8>:
	v_cndmask_b32_e64 v56, v56, v159, s[60:61]                 // 0000000063A0: D1000038 00F33F38
	s_lshl_b32 s60, s60, 1                                     // 0000000063A8: 8E3C813C
	s_lshl_b32 s61, s61, 1                                     // 0000000063AC: 8E3D813D
	s_and_b32 s60, 0xfffeffff, s60                             // 0000000063B0: 863C3CFF FFFEFFFF
	s_and_b32 s61, 0xfffeffff, s61                             // 0000000063B8: 863D3DFF FFFEFFFF
	v_cndmask_b32_e64 v57, v57, v159, s[60:61]                 // 0000000063C0: D1000039 00F33F39
	s_lshl_b32 s60, s60, 1                                     // 0000000063C8: 8E3C813C
	s_lshl_b32 s61, s61, 1                                     // 0000000063CC: 8E3D813D
	s_and_b32 s60, 0xfffeffff, s60                             // 0000000063D0: 863C3CFF FFFEFFFF
	s_and_b32 s61, 0xfffeffff, s61                             // 0000000063D8: 863D3DFF FFFEFFFF
	v_cndmask_b32_e64 v58, v58, v159, s[60:61]                 // 0000000063E0: D100003A 00F33F3A
	s_lshl_b32 s60, s60, 1                                     // 0000000063E8: 8E3C813C
	s_lshl_b32 s61, s61, 1                                     // 0000000063EC: 8E3D813D
	s_and_b32 s60, 0xfffeffff, s60                             // 0000000063F0: 863C3CFF FFFEFFFF
	s_and_b32 s61, 0xfffeffff, s61                             // 0000000063F8: 863D3DFF FFFEFFFF
	v_cndmask_b32_e64 v59, v59, v159, s[60:61]                 // 000000006400: D100003B 00F33F3B
	s_branch label_0908                                        // 000000006408: BF820005

000000000000640c <label_0903>:
	v_mov_b32_e32 v56, v159                                    // 00000000640C: 7E70039F
	v_mov_b32_e32 v57, v159                                    // 000000006410: 7E72039F
	v_mov_b32_e32 v58, v159                                    // 000000006414: 7E74039F
	v_mov_b32_e32 v59, v159                                    // 000000006418: 7E76039F
	s_branch label_0908                                        // 00000000641C: BF820000

0000000000006420 <label_0908>:
	s_cmp_lt_i32 s84, 64                                       // 000000006420: BF04C054
	s_cbranch_scc0 label_0919                                  // 000000006424: BF84000F
	v_and_b32_e32 v28, 15, v0                                  // 000000006428: 2638008F
	v_mul_i32_i24_e64 v29, s46, 16                             // 00000000642C: D106001D 0001202E
	v_add_u32_e32 v28, v28, v29                                // 000000006434: 68383B1C
	v_cmp_lt_u32_e64 s[60:61], v28, s84                        // 000000006438: D0C9003C 0000A91C
	s_nop 1                                                    // 000000006440: BF800001
	v_cndmask_b32_e64 v56, v159, v56, s[60:61]                 // 000000006444: D1000038 00F2719F
	v_cndmask_b32_e64 v57, v159, v57, s[60:61]                 // 00000000644C: D1000039 00F2739F
	v_cndmask_b32_e64 v58, v159, v58, s[60:61]                 // 000000006454: D100003A 00F2759F
	v_cndmask_b32_e64 v59, v159, v59, s[60:61]                 // 00000000645C: D100003B 00F2779F

0000000000006464 <label_0919>:
	s_addk_i32 s74, 0x1                                        // 000000006464: B74A0001
	s_waitcnt lgkmcnt(6)                                       // 000000006468: BF8CC67F
	s_barrier                                                  // 00000000646C: BF8A0000
	v_mfma_f32_16x16x16_bf16 v[64:67], v[80:81], a[48:49], 0   // 000000006470: D3E10040 12026150
	ds_read_b128 a[72:75], v12 offset:6528                     // 000000006478: DBFE1980 4800000C
	ds_read_b128 a[76:79], v12 offset:7040                     // 000000006480: DBFE1B80 4C00000C
	ds_write_b32 v11, v32                                      // 000000006488: D81A0000 0000200B
	ds_write_b32 v11, v33 offset:1056                          // 000000006490: D81A0420 0000210B
	v_mfma_f32_16x16x16_bf16 v[64:67], v[82:83], a[50:51], v[64:67]// 000000006498: D3E10040 15026552
	v_fma_f32 v56, v56, s57, -v128                             // 0000000064A0: D1CB0038 86007338
	v_fma_f32 v57, v57, s57, -v129                             // 0000000064A8: D1CB0039 86047339
	v_fma_f32 v58, v58, s57, -v130                             // 0000000064B0: D1CB003A 8608733A
	v_fma_f32 v59, v59, s57, -v131                             // 0000000064B8: D1CB003B 860C733B
	v_mfma_f32_16x16x16_bf16 v[64:67], v[84:85], a[52:53], v[64:67]// 0000000064C0: D3E10040 15026954
	ds_read_b128 a[80:83], v12 offset:8704                     // 0000000064C8: DBFE2200 5000000C
	ds_read_b128 a[84:87], v12 offset:9216                     // 0000000064D0: DBFE2400 5400000C
	ds_write_b32 v11, v34 offset:2176                          // 0000000064D8: D81A0880 0000220B
	v_mfma_f32_16x16x16_bf16 v[64:67], v[86:87], a[54:55], v[64:67]// 0000000064E0: D3E10040 15026D56
	v_exp_f32_e32 v56, v56                                     // 0000000064E8: 7E704138
	v_mfma_f32_16x16x16_bf16 v[64:67], v[88:89], a[56:57], v[64:67]// 0000000064EC: D3E10040 15027158
	ds_read_b128 a[88:91], v12 offset:10880                    // 0000000064F4: DBFE2A80 5800000C
	ds_read_b128 a[92:95], v12 offset:11392                    // 0000000064FC: DBFE2C80 5C00000C
	ds_write_b32 v11, v35 offset:3232                          // 000000006504: D81A0CA0 0000230B
	v_mfma_f32_16x16x16_bf16 v[64:67], v[90:91], a[58:59], v[64:67]// 00000000650C: D3E10040 1502755A
	v_exp_f32_e32 v57, v57                                     // 000000006514: 7E724139
	v_mfma_f32_16x16x16_bf16 v[64:67], v[92:93], a[60:61], v[64:67]// 000000006518: D3E10040 1502795C
	ds_read_b64 v[144:145], v19 offset:28416                   // 000000006520: D8EC6F00 90000013
	ds_read_b64 v[146:147], v19 offset:30464                   // 000000006528: D8EC7700 92000013
	ds_read_b64 v[148:149], v19 offset:32512                   // 000000006530: D8EC7F00 94000013
	ds_write_b32 v11, v36 offset:4352                          // 000000006538: D81A1100 0000240B
	v_mfma_f32_16x16x16_bf16 v[64:67], v[94:95], a[62:63], v[64:67]// 000000006540: D3E10040 15027D5E
	v_exp_f32_e32 v58, v58                                     // 000000006548: 7E74413A
	v_mfma_f32_16x16x16_bf16 v[64:67], v[96:97], a[64:65], v[64:67]// 00000000654C: D3E10040 15028160
	ds_read_b64 v[150:151], v19 offset:34560                   // 000000006554: D8EC8700 96000013
	ds_read_b64 v[152:153], v19 offset:36608                   // 00000000655C: D8EC8F00 98000013
	ds_read_b64 v[154:155], v19 offset:38656                   // 000000006564: D8EC9700 9A000013
	ds_write_b32 v11, v37 offset:5408                          // 00000000656C: D81A1520 0000250B
	v_mfma_f32_16x16x16_bf16 v[64:67], v[98:99], a[66:67], v[64:67]// 000000006574: D3E10040 15028562
	v_exp_f32_e32 v59, v59                                     // 00000000657C: 7E76413B
	v_mfma_f32_16x16x16_bf16 v[64:67], v[100:101], a[68:69], v[64:67]// 000000006580: D3E10040 15028964
	v_cmp_u_f32_e64 s[78:79], v56, v56                         // 000000006588: D048004E 00027138
	v_bfe_u32 v208, v56, 16, 1                                 // 000000006590: D1C800D0 02052138
	v_add3_u32 v208, v56, v208, v211                           // 000000006598: D1FF00D0 074FA138
	v_cndmask_b32_e64 v28, v208, v210, s[78:79]                // 0000000065A0: D100001C 013BA5D0
	v_lshrrev_b32_e32 v28, 16, v28                             // 0000000065A8: 20383890
	v_cmp_u_f32_e64 s[78:79], v57, v57                         // 0000000065AC: D048004E 00027339
	v_bfe_u32 v208, v57, 16, 1                                 // 0000000065B4: D1C800D0 02052139
	v_add3_u32 v208, v57, v208, v211                           // 0000000065BC: D1FF00D0 074FA139
	v_cndmask_b32_e64 v29, v208, v210, s[78:79]                // 0000000065C4: D100001D 013BA5D0
	v_and_or_b32 v156, v29, v209, v28                          // 0000000065CC: D201009C 0473A31D
	v_mfma_f32_16x16x16_bf16 v[64:67], v[102:103], a[70:71], v[64:67]// 0000000065D4: D3E10040 15028D66
	v_cmp_u_f32_e64 s[78:79], v58, v58                         // 0000000065DC: D048004E 0002753A
	v_bfe_u32 v208, v58, 16, 1                                 // 0000000065E4: D1C800D0 0205213A
	v_add3_u32 v208, v58, v208, v211                           // 0000000065EC: D1FF00D0 074FA13A
	v_cndmask_b32_e64 v28, v208, v210, s[78:79]                // 0000000065F4: D100001C 013BA5D0
	v_lshrrev_b32_e32 v28, 16, v28                             // 0000000065FC: 20383890
	v_cmp_u_f32_e64 s[78:79], v59, v59                         // 000000006600: D048004E 0002773B
	v_bfe_u32 v208, v59, 16, 1                                 // 000000006608: D1C800D0 0205213B
	v_add3_u32 v208, v59, v208, v211                           // 000000006610: D1FF00D0 074FA13B
	v_cndmask_b32_e64 v29, v208, v210, s[78:79]                // 000000006618: D100001D 013BA5D0
	v_and_or_b32 v157, v29, v209, v28                          // 000000006620: D201009D 0473A31D
	v_add_u32_e32 v7, s66, v7                                  // 000000006628: 680E0E42
	v_add_u32_e32 v8, s66, v8                                  // 00000000662C: 68101042
	s_waitcnt lgkmcnt(0)                                       // 000000006630: BF8CC07F
	s_barrier                                                  // 000000006634: BF8A0000
	v_mfma_f32_16x16x16_bf16 v[160:163], v[104:105], v[156:157], v[160:163]// 000000006638: D3E100A0 06833968
	v_subrev_f32_dpp v64, v158, v64 quad_perm:[0,0,0,0] row_mask:0xf bank_mask:0xf// 000000006640: 068080FA FF00009E
	v_subrev_f32_dpp v65, v158, v65 quad_perm:[1,1,1,1] row_mask:0xf bank_mask:0xf// 000000006648: 068282FA FF00559E
	buffer_atomic_add_f32 v144, v7, s[32:35], 0 offen          // 000000006650: E1341000 80089007
	v_mfma_f32_16x16x16_bf16 v[164:167], v[106:107], v[156:157], v[164:167]// 000000006658: D3E100A4 0693396A
	v_subrev_f32_dpp v66, v158, v66 quad_perm:[2,2,2,2] row_mask:0xf bank_mask:0xf// 000000006660: 068484FA FF00AA9E
	v_subrev_f32_dpp v67, v158, v67 quad_perm:[3,3,3,3] row_mask:0xf bank_mask:0xf// 000000006668: 068686FA FF00FF9E
	buffer_atomic_add_f32 v145, v8, s[32:35], 0 offen          // 000000006670: E1341000 80089108
	v_mfma_f32_16x16x16_bf16 v[168:171], v[108:109], v[156:157], v[168:171]// 000000006678: D3E100A8 06A3396C
	v_mul_f32_e32 v64, v56, v64                                // 000000006680: 0A808138
	v_mul_f32_e32 v65, v57, v65                                // 000000006684: 0A828339
	buffer_atomic_add_f32 v146, v7, s[32:35], 0 offen offset:128// 000000006688: E1341080 80089207
	v_mfma_f32_16x16x16_bf16 v[172:175], v[110:111], v[156:157], v[172:175]// 000000006690: D3E100AC 06B3396E
	v_mul_f32_e32 v66, v58, v66                                // 000000006698: 0A84853A
	v_mul_f32_e32 v67, v59, v67                                // 00000000669C: 0A86873B
	buffer_atomic_add_f32 v147, v8, s[32:35], 0 offen offset:128// 0000000066A0: E1341080 80089308
	v_mfma_f32_16x16x16_bf16 v[176:179], v[112:113], v[156:157], v[176:179]// 0000000066A8: D3E100B0 06C33970
	v_cmp_u_f32_e64 s[78:79], v64, v64                         // 0000000066B0: D048004E 00028140
	v_bfe_u32 v208, v64, 16, 1                                 // 0000000066B8: D1C800D0 02052140
	v_add3_u32 v208, v64, v208, v211                           // 0000000066C0: D1FF00D0 074FA140
	v_cndmask_b32_e64 v28, v208, v210, s[78:79]                // 0000000066C8: D100001C 013BA5D0
	v_lshrrev_b32_e32 v28, 16, v28                             // 0000000066D0: 20383890
	v_cmp_u_f32_e64 s[78:79], v65, v65                         // 0000000066D4: D048004E 00028341
	v_bfe_u32 v208, v65, 16, 1                                 // 0000000066DC: D1C800D0 02052141
	v_add3_u32 v208, v65, v208, v211                           // 0000000066E4: D1FF00D0 074FA141
	v_cndmask_b32_e64 v29, v208, v210, s[78:79]                // 0000000066EC: D100001D 013BA5D0
	v_and_or_b32 v64, v29, v209, v28                           // 0000000066F4: D2010040 0473A31D
	v_mfma_f32_16x16x16_bf16 v[180:183], v[114:115], v[156:157], v[180:183]// 0000000066FC: D3E100B4 06D33972
	v_cmp_u_f32_e64 s[78:79], v66, v66                         // 000000006704: D048004E 00028542
	v_bfe_u32 v208, v66, 16, 1                                 // 00000000670C: D1C800D0 02052142
	v_add3_u32 v208, v66, v208, v211                           // 000000006714: D1FF00D0 074FA142
	v_cndmask_b32_e64 v28, v208, v210, s[78:79]                // 00000000671C: D100001C 013BA5D0
	v_lshrrev_b32_e32 v28, 16, v28                             // 000000006724: 20383890
	v_cmp_u_f32_e64 s[78:79], v67, v67                         // 000000006728: D048004E 00028743
	v_bfe_u32 v208, v67, 16, 1                                 // 000000006730: D1C800D0 02052143
	v_add3_u32 v208, v67, v208, v211                           // 000000006738: D1FF00D0 074FA143
	v_cndmask_b32_e64 v29, v208, v210, s[78:79]                // 000000006740: D100001D 013BA5D0
	v_and_or_b32 v65, v29, v209, v28                           // 000000006748: D2010041 0473A31D
	v_mfma_f32_16x16x16_bf16 v[184:187], v[116:117], v[156:157], v[184:187]// 000000006750: D3E100B8 06E33974
	v_mov_b32_dpp v16, v64 quad_perm:[1,0,3,2] row_mask:0xf bank_mask:0xf// 000000006758: 7E2002FA FF00B140
	v_perm_b32 v56, v16, v64, v15                              // 000000006760: D1ED0038 043E8110
	buffer_atomic_add_f32 v148, v7, s[32:35], 0 offen offset:256// 000000006768: E1341100 80089407
	v_mfma_f32_16x16x16_bf16 v[188:191], v[118:119], v[156:157], v[188:191]// 000000006770: D3E100BC 06F33976
	v_mov_b32_dpp v16, v65 quad_perm:[1,0,3,2] row_mask:0xf bank_mask:0xf// 000000006778: 7E2002FA FF00B141
	v_perm_b32 v57, v16, v65, v15                              // 000000006780: D1ED0039 043E8310
	buffer_atomic_add_f32 v149, v8, s[32:35], 0 offen offset:256// 000000006788: E1341100 80089508
	v_mfma_f32_16x16x16_bf16 v[192:195], v[120:121], v[156:157], v[192:195]// 000000006790: D3E100C0 07033978
	ds_write_b32 v13, v68 offset:6528                          // 000000006798: D81A1980 0000440D
	ds_write_b32 v13, v69 offset:7584                          // 0000000067A0: D81A1DA0 0000450D
	v_mfma_f32_16x16x16_bf16 v[196:199], v[122:123], v[156:157], v[196:199]// 0000000067A8: D3E100C4 0713397A
	ds_write_b32 v18, v56 offset:26112                         // 0000000067B0: D81A6600 00003812
	ds_write_b32 v18, v57 offset:26656                         // 0000000067B8: D81A6820 00003912
	v_mfma_f32_16x16x16_bf16 v[200:203], v[124:125], v[156:157], v[200:203]// 0000000067C0: D3E100C8 0723397C
	ds_write_b32 v13, v70 offset:8704                          // 0000000067C8: D81A2200 0000460D
	ds_write_b32 v13, v71 offset:9760                          // 0000000067D0: D81A2620 0000470D
	v_mfma_f32_16x16x16_bf16 v[204:207], v[126:127], v[156:157], v[204:207]// 0000000067D8: D3E100CC 0733397E
	ds_write_b32 v13, v72 offset:10880                         // 0000000067E0: D81A2A80 0000480D
	ds_write_b32 v13, v73 offset:11936                         // 0000000067E8: D81A2EA0 0000490D
	s_barrier                                                  // 0000000067F0: BF8A0000
	v_mfma_f32_16x16x16_bf16 a[96:99], a[72:73], v[64:65], a[96:99]// 0000000067F4: D3E18060 0D828148
	buffer_atomic_add_f32 v150, v7, s[32:35], 0 offen offset:384// 0000000067FC: E1341180 80089607
	buffer_atomic_add_f32 v151, v8, s[32:35], 0 offen offset:384// 000000006804: E1341180 80089708
	v_mfma_f32_16x16x16_bf16 a[100:103], a[74:75], v[64:65], a[100:103]// 00000000680C: D3E18064 0D92814A
	ds_read_b32 v128, v21 offset:40704                         // 000000006814: D86C9F00 80000015
	ds_read_b32 v158, v21 offset:40960                         // 00000000681C: D86CA000 9E000015
	v_mfma_f32_16x16x16_bf16 a[104:107], a[76:77], v[64:65], a[104:107]// 000000006824: D3E18068 0DA2814C
	s_waitcnt lgkmcnt(6)                                       // 00000000682C: BF8CC67F
	s_barrier                                                  // 000000006830: BF8A0000
	v_mfma_f32_16x16x16_bf16 a[108:111], a[78:79], v[64:65], a[108:111]// 000000006834: D3E1806C 0DB2814E
	ds_read_b128 v[56:59], v17 offset:26112                    // 00000000683C: D9FE6600 38000011
	v_mfma_f32_16x16x16_bf16 a[112:115], a[80:81], v[64:65], a[112:115]// 000000006844: D3E18070 0DC28150
	s_mov_b64 exec, s[44:45]                                   // 00000000684C: BEFE012C
	buffer_atomic_add_f32 v152, v7, s[32:35], 0 offen offset:512// 000000006850: E1341200 80089807
	s_mov_b32 exec_lo, -1                                      // 000000006858: BEFE00C1
	s_mov_b32 exec_hi, -1                                      // 00000000685C: BEFF00C1
	v_mfma_f32_16x16x16_bf16 a[116:119], a[82:83], v[64:65], a[116:119]// 000000006860: D3E18074 0DD28152
	ds_read_b128 v[60:63], v17 offset:27264                    // 000000006868: D9FE6A80 3C000011
	v_mfma_f32_16x16x16_bf16 a[120:123], a[84:85], v[64:65], a[120:123]// 000000006870: D3E18078 0DE28154
	s_mov_b64 exec, s[44:45]                                   // 000000006878: BEFE012C
	buffer_atomic_add_f32 v153, v8, s[32:35], 0 offen offset:512// 00000000687C: E1341200 80089908
	s_mov_b32 exec_lo, -1                                      // 000000006884: BEFE00C1
	s_mov_b32 exec_hi, -1                                      // 000000006888: BEFF00C1
	v_mfma_f32_16x16x16_bf16 a[124:127], a[86:87], v[64:65], a[124:127]// 00000000688C: D3E1807C 0DF28156
	ds_write_b32 v13, v74 offset:19584                         // 000000006894: D81A4C80 00004A0D
	ds_write_b32 v13, v75 offset:20640                         // 00000000689C: D81A50A0 00004B0D
	v_mfma_f32_16x16x16_bf16 a[128:131], a[88:89], v[64:65], a[128:131]// 0000000068A4: D3E18080 0E028158
	s_mov_b64 exec, s[92:93]                                   // 0000000068AC: BEFE015C
	buffer_atomic_add_f32 v154, v7, s[32:35], 0 offen offset:640// 0000000068B0: E1341280 80089A07
	s_mov_b32 exec_lo, -1                                      // 0000000068B8: BEFE00C1
	s_mov_b32 exec_hi, -1                                      // 0000000068BC: BEFF00C1
	v_mfma_f32_16x16x16_bf16 a[132:135], a[90:91], v[64:65], a[132:135]// 0000000068C0: D3E18084 0E12815A
	ds_write_b32 v13, v76 offset:21760                         // 0000000068C8: D81A5500 00004C0D
	ds_write_b32 v13, v77 offset:22816                         // 0000000068D0: D81A5920 00004D0D
	v_mfma_f32_16x16x16_bf16 a[136:139], a[92:93], v[64:65], a[136:139]// 0000000068D8: D3E18088 0E22815C
	s_mov_b64 exec, s[92:93]                                   // 0000000068E0: BEFE015C
	buffer_atomic_add_f32 v155, v8, s[32:35], 0 offen offset:640// 0000000068E4: E1341280 80089B08
	s_mov_b32 exec_lo, -1                                      // 0000000068EC: BEFE00C1
	s_mov_b32 exec_hi, -1                                      // 0000000068F0: BEFF00C1
	v_mfma_f32_16x16x16_bf16 a[140:143], a[94:95], v[64:65], a[140:143]// 0000000068F4: D3E1808C 0E32815E
	ds_write_b32 v13, v78 offset:23936                         // 0000000068FC: D81A5D80 00004E0D
	ds_write_b32 v13, v79 offset:24992                         // 000000006904: D81A61A0 00004F0D
	s_waitcnt vmcnt(12) lgkmcnt(6)                             // 00000000690C: BF8C067C
	s_barrier                                                  // 000000006910: BF8A0000
	v_mfma_f32_16x16x16_bf16 v[132:135], v[56:57], a[24:25], 0 // 000000006914: D3E10084 12023138
	v_mul_f32_e32 v128, s48, v128                              // 00000000691C: 0B010030
	v_perm_b32 v68, v39, v38, s63                              // 000000006920: D1ED0044 00FE4D27
	v_perm_b32 v69, v39, v38, s64                              // 000000006928: D1ED0045 01024D27
	v_perm_b32 v70, v41, v40, s63                              // 000000006930: D1ED0046 00FE5129
	v_mfma_f32_16x16x16_bf16 v[132:135], v[58:59], a[30:31], v[132:135]// 000000006938: D3E10084 16123D3A
	ds_read_b128 a[72:75], v10                                 // 000000006940: DBFE0000 4800000A
	ds_read_b128 a[76:79], v10 offset:512                      // 000000006948: DBFE0200 4C00000A
	ds_read_b128 a[80:83], v10 offset:2176                     // 000000006950: DBFE0880 5000000A
	buffer_load_dword v32, v1, s[8:11], 0 idxen                // 000000006958: E0502000 80022001
	buffer_load_dword v33, v2, s[8:11], 0 idxen                // 000000006960: E0502000 80022102
	v_mfma_f32_16x16x16_bf16 v[132:135], v[60:61], a[36:37], v[132:135]// 000000006968: D3E10084 1612493C
	v_perm_b32 v71, v41, v40, s64                              // 000000006970: D1ED0047 01025129
	v_perm_b32 v72, v43, v42, s63                              // 000000006978: D1ED0048 00FE552B
	v_perm_b32 v73, v43, v42, s64                              // 000000006980: D1ED0049 0102552B
	v_mfma_f32_16x16x16_bf16 v[132:135], v[62:63], a[42:43], v[132:135]// 000000006988: D3E10084 1612553E
	ds_read_b128 a[84:87], v10 offset:2688                     // 000000006990: DBFE0A80 5400000A
	ds_read_b128 a[88:91], v10 offset:4352                     // 000000006998: DBFE1100 5800000A
	ds_read_b128 a[92:95], v10 offset:4864                     // 0000000069A0: DBFE1300 5C00000A
	buffer_load_dword v34, v1, s[8:11], 0 idxen offset:128     // 0000000069A8: E0502080 80022201
	buffer_load_dword v35, v2, s[8:11], 0 idxen offset:128     // 0000000069B0: E0502080 80022302
	v_mfma_f32_16x16x16_bf16 v[136:139], v[56:57], a[26:27], 0 // 0000000069B8: D3E10088 12023538
	v_perm_b32 v74, v51, v50, s63                              // 0000000069C0: D1ED004A 00FE6533
	v_perm_b32 v75, v51, v50, s64                              // 0000000069C8: D1ED004B 01026533
	v_perm_b32 v76, v53, v52, s63                              // 0000000069D0: D1ED004C 00FE6935
	v_mov_b32_dpp v131, v128 quad_perm:[3,3,3,3] row_mask:0xf bank_mask:0xf// 0000000069D8: 7F0602FA FF00FF80
	v_mov_b32_dpp v130, v128 quad_perm:[2,2,2,2] row_mask:0xf bank_mask:0xf// 0000000069E0: 7F0402FA FF00AA80
	v_mfma_f32_16x16x16_bf16 v[136:139], v[58:59], a[32:33], v[136:139]// 0000000069E8: D3E10088 1622413A
	ds_read_b128 v[80:83], v10 offset:13056                    // 0000000069F0: D9FE3300 5000000A
	ds_read_b128 v[84:87], v10 offset:13568                    // 0000000069F8: D9FE3500 5400000A
	ds_read_b128 v[88:91], v10 offset:15232                    // 000000006A00: D9FE3B80 5800000A
	buffer_load_dword v44, v212, s[20:23], 0 idxen             // 000000006A08: E0502000 80052CD4
	buffer_load_dword v45, v213, s[20:23], 0 idxen             // 000000006A10: E0502000 80052DD5
	v_mfma_f32_16x16x16_bf16 v[136:139], v[60:61], a[38:39], v[136:139]// 000000006A18: D3E10088 16224D3C
	v_perm_b32 v77, v53, v52, s64                              // 000000006A20: D1ED004D 01026935
	v_perm_b32 v78, v55, v54, s63                              // 000000006A28: D1ED004E 00FE6D37
	v_perm_b32 v79, v55, v54, s64                              // 000000006A30: D1ED004F 01026D37
	v_mov_b32_dpp v129, v128 quad_perm:[1,1,1,1] row_mask:0xf bank_mask:0xf// 000000006A38: 7F0202FA FF005580
	v_mov_b32_dpp v128, v128 quad_perm:[0,0,0,0] row_mask:0xf bank_mask:0xf// 000000006A40: 7F0002FA FF000080
	v_mfma_f32_16x16x16_bf16 v[136:139], v[62:63], a[44:45], v[136:139]// 000000006A48: D3E10088 1622593E
	ds_read_b128 v[92:95], v10 offset:15744                    // 000000006A50: D9FE3D80 5C00000A
	ds_read_b128 v[96:99], v10 offset:17408                    // 000000006A58: D9FE4400 6000000A
	ds_read_b128 v[100:103], v10 offset:17920                  // 000000006A60: D9FE4600 6400000A
	buffer_load_dword v46, v212, s[20:23], 0 idxen offset:128  // 000000006A68: E0502080 80052ED4
	buffer_load_dword v47, v213, s[20:23], 0 idxen offset:128  // 000000006A70: E0502080 80052FD5
	v_mfma_f32_16x16x16_bf16 v[140:143], v[56:57], a[28:29], 0 // 000000006A78: D3E1008C 12023938
	s_add_u32 s60, 64, s59                                     // 000000006A80: 803C3BC0
	s_cmp_lt_u32 s60, s58                                      // 000000006A84: BF0A3A3C
	s_cselect_b32 s68, s68, 0                                  // 000000006A88: 85448044
	s_cselect_b32 s100, s100, 0                                // 000000006A8C: 85648064
	s_cselect_b32 s69, s69, 0                                  // 000000006A90: 85458045
	v_mfma_f32_16x16x16_bf16 v[140:143], v[58:59], a[34:35], v[140:143]// 000000006A94: D3E1008C 1632453A
	buffer_load_dword v9, s[24:27], 0 idxen lds                // 000000006A9C: E0512000 80060009
	v_mov_b32_e32 v36, 0                                       // 000000006AA4: 7E480280
	s_mov_b64 exec, s[82:83]                                   // 000000006AA8: BEFE0152
	buffer_load_dword v36, v1, s[8:11], 0 idxen offset:256     // 000000006AAC: E0502100 80022401
	s_mov_b32 exec_lo, -1                                      // 000000006AB4: BEFE00C1
	s_mov_b32 exec_hi, -1                                      // 000000006AB8: BEFF00C1
	v_mov_b32_e32 v37, 0                                       // 000000006ABC: 7E4A0280
	s_mov_b64 exec, s[82:83]                                   // 000000006AC0: BEFE0152
	buffer_load_dword v37, v2, s[8:11], 0 idxen offset:256     // 000000006AC4: E0502100 80022502
	s_mov_b32 exec_lo, -1                                      // 000000006ACC: BEFE00C1
	s_mov_b32 exec_hi, -1                                      // 000000006AD0: BEFF00C1
	v_mfma_f32_16x16x16_bf16 v[140:143], v[60:61], a[40:41], v[140:143]// 000000006AD4: D3E1008C 1632513C
	v_mov_b32_e32 v48, 0                                       // 000000006ADC: 7E600280
	s_mov_b64 exec, s[82:83]                                   // 000000006AE0: BEFE0152
	buffer_load_dword v48, v212, s[20:23], 0 idxen offset:256  // 000000006AE4: E0502100 800530D4
	s_mov_b32 exec_lo, -1                                      // 000000006AEC: BEFE00C1
	s_mov_b32 exec_hi, -1                                      // 000000006AF0: BEFF00C1
	v_mov_b32_e32 v49, 0                                       // 000000006AF4: 7E620280
	s_mov_b64 exec, s[82:83]                                   // 000000006AF8: BEFE0152
	buffer_load_dword v49, v213, s[20:23], 0 idxen offset:256  // 000000006AFC: E0502100 800531D5
	s_mov_b32 exec_lo, -1                                      // 000000006B04: BEFE00C1
	s_mov_b32 exec_hi, -1                                      // 000000006B08: BEFF00C1
	v_add_u32_e32 v1, s68, v1                                  // 000000006B0C: 68020244
	v_add_u32_e32 v2, s68, v2                                  // 000000006B10: 68040444
	v_add_u32_e32 v212, s100, v212                             // 000000006B14: 69A9A864
	v_add_u32_e32 v213, s100, v213                             // 000000006B18: 69ABAA64
	s_mov_b32 m0, s81                                          // 000000006B1C: BEFC0051
	v_add_u32_e32 v9, s69, v9                                  // 000000006B20: 68121245
	v_mfma_f32_16x16x16_bf16 v[140:143], v[62:63], a[46:47], v[140:143]// 000000006B24: D3E1008C 16325D3E
	s_cmp_ge_u32 s59, s73                                      // 000000006B2C: BF09493B
	s_cselect_b32 s66, s67, s66                                // 000000006B30: 85424243
	s_addk_i32 s59, 0x10                                       // 000000006B34: B73B0010
	s_nop 0                                                    // 000000006B38: BF800000
	s_cmp_lt_i32 s59, s58                                      // 000000006B3C: BF043A3B
	s_cbranch_scc0 label_0AD2                                  // 000000006B40: BF840001
	s_branch label_0653                                        // 000000006B44: BF82FB81

0000000000006b48 <label_0AD2>:
	s_nop 0                                                    // 000000006B48: BF800000
	s_nop 0                                                    // 000000006B4C: BF800000
	s_branch label_0F54                                        // 000000006B50: BF82047F

0000000000006b54 <label_0AD5>:
	s_waitcnt lgkmcnt(0)                                       // 000000006B54: BF8CC07F
	s_barrier                                                  // 000000006B58: BF8A0000
	v_mfma_f32_16x16x16_bf16 v[56:59], a[72:73], a[0:1], 0     // 000000006B5C: D3E10038 1A020148
	v_mul_f32_e32 v132, s47, v132                              // 000000006B64: 0B09082F
	v_mul_f32_e32 v133, s47, v133                              // 000000006B68: 0B0B0A2F
	v_mul_f32_e32 v134, s47, v134                              // 000000006B6C: 0B0D0C2F
	v_mul_f32_e32 v135, s47, v135                              // 000000006B70: 0B0F0E2F
	v_mfma_f32_16x16x16_bf16 v[56:59], a[74:75], a[2:3], v[56:59]// 000000006B74: D3E10038 1CE2054A
	ds_write_b32 v11, v50 offset:13056                         // 000000006B7C: D81A3300 0000320B
	ds_write_b32 v11, v51 offset:14112                         // 000000006B84: D81A3720 0000330B
	ds_write_b32 v11, v52 offset:15232                         // 000000006B8C: D81A3B80 0000340B
	v_mfma_f32_16x16x16_bf16 v[56:59], a[76:77], a[4:5], v[56:59]// 000000006B94: D3E10038 1CE2094C
	v_mul_f32_e32 v136, s47, v136                              // 000000006B9C: 0B11102F
	v_mul_f32_e32 v137, s47, v137                              // 000000006BA0: 0B13122F
	v_mul_f32_e32 v138, s47, v138                              // 000000006BA4: 0B15142F
	v_mul_f32_e32 v139, s47, v139                              // 000000006BA8: 0B17162F
	v_mfma_f32_16x16x16_bf16 v[56:59], a[78:79], a[6:7], v[56:59]// 000000006BAC: D3E10038 1CE20D4E
	ds_write_b32 v11, v53 offset:16288                         // 000000006BB4: D81A3FA0 0000350B
	ds_write_b32 v11, v54 offset:17408                         // 000000006BBC: D81A4400 0000360B
	ds_write_b32 v11, v55 offset:18464                         // 000000006BC4: D81A4820 0000370B
	v_mfma_f32_16x16x16_bf16 v[56:59], a[80:81], a[8:9], v[56:59]// 000000006BCC: D3E10038 1CE21150
	v_mul_f32_e32 v140, s47, v140                              // 000000006BD4: 0B19182F
	v_mul_f32_e32 v141, s47, v141                              // 000000006BD8: 0B1B1A2F
	v_mul_f32_e32 v142, s47, v142                              // 000000006BDC: 0B1D1C2F
	v_mul_f32_e32 v143, s47, v143                              // 000000006BE0: 0B1F1E2F
	v_mfma_f32_16x16x16_bf16 v[56:59], a[82:83], a[10:11], v[56:59]// 000000006BE4: D3E10038 1CE21552
	ds_write_b64 v20, v[132:133] offset:28416                  // 000000006BEC: D89A6F00 00008414
	ds_write_b64 v20, v[134:135] offset:28928                  // 000000006BF4: D89A7100 00008614
	v_mfma_f32_16x16x16_bf16 v[56:59], a[84:85], a[12:13], v[56:59]// 000000006BFC: D3E10038 1CE21954
	ds_write_b64 v20, v[136:137] offset:29440                  // 000000006C04: D89A7300 00008814
	ds_write_b64 v20, v[138:139] offset:29952                  // 000000006C0C: D89A7500 00008A14
	v_mfma_f32_16x16x16_bf16 v[56:59], a[86:87], a[14:15], v[56:59]// 000000006C14: D3E10038 1CE21D56
	ds_write_b64 v20, v[140:141] offset:30464                  // 000000006C1C: D89A7700 00008C14
	ds_write_b64 v20, v[142:143] offset:30976                  // 000000006C24: D89A7900 00008E14
	v_mfma_f32_16x16x16_bf16 v[56:59], a[88:89], a[16:17], v[56:59]// 000000006C2C: D3E10038 1CE22158
	ds_read_b128 v[104:107], v12 offset:19584                  // 000000006C34: D9FE4C80 6800000C
	v_mfma_f32_16x16x16_bf16 v[56:59], a[90:91], a[18:19], v[56:59]// 000000006C3C: D3E10038 1CE2255A
	ds_read_b128 v[108:111], v12 offset:20096                  // 000000006C44: D9FE4E80 6C00000C
	v_mfma_f32_16x16x16_bf16 v[56:59], a[92:93], a[20:21], v[56:59]// 000000006C4C: D3E10038 1CE2295C
	ds_read_b128 v[112:115], v12 offset:21760                  // 000000006C54: D9FE5500 7000000C
	ds_read_b128 v[116:119], v12 offset:22272                  // 000000006C5C: D9FE5700 7400000C
	v_mfma_f32_16x16x16_bf16 v[56:59], a[94:95], a[22:23], v[56:59]// 000000006C64: D3E10038 1CE22D5E
	ds_read_b128 v[120:123], v12 offset:23936                  // 000000006C6C: D9FE5D80 7800000C
	ds_read_b128 v[124:127], v12 offset:24448                  // 000000006C74: D9FE5F80 7C00000C
	s_cmp_lt_i32 s74, 4                                        // 000000006C7C: BF04844A
	s_cbranch_scc0 label_0B4B                                  // 000000006C80: BF84002A
	s_mov_b32 s60, 0xffe0fffe                                  // 000000006C84: BEBC00FF FFE0FFFE
	s_mov_b32 s61, 0xe000fe00                                  // 000000006C8C: BEBD00FF E000FE00
	s_nop 0                                                    // 000000006C94: BF800000
	s_cmp_lt_i32 s74, s46                                      // 000000006C98: BF042E4A
	s_cbranch_scc1 label_0B46                                  // 000000006C9C: BF85001E
	s_cmp_eq_i32 s74, s46                                      // 000000006CA0: BF002E4A
	s_cbranch_scc1 label_0B2B                                  // 000000006CA4: BF850001
	s_branch label_0B4B                                        // 000000006CA8: BF820020

0000000000006cac <label_0B2B>:
	v_cndmask_b32_e64 v56, v56, v159, s[60:61]                 // 000000006CAC: D1000038 00F33F38
	s_lshl_b32 s60, s60, 1                                     // 000000006CB4: 8E3C813C
	s_lshl_b32 s61, s61, 1                                     // 000000006CB8: 8E3D813D
	s_and_b32 s60, 0xfffeffff, s60                             // 000000006CBC: 863C3CFF FFFEFFFF
	s_and_b32 s61, 0xfffeffff, s61                             // 000000006CC4: 863D3DFF FFFEFFFF
	v_cndmask_b32_e64 v57, v57, v159, s[60:61]                 // 000000006CCC: D1000039 00F33F39
	s_lshl_b32 s60, s60, 1                                     // 000000006CD4: 8E3C813C
	s_lshl_b32 s61, s61, 1                                     // 000000006CD8: 8E3D813D
	s_and_b32 s60, 0xfffeffff, s60                             // 000000006CDC: 863C3CFF FFFEFFFF
	s_and_b32 s61, 0xfffeffff, s61                             // 000000006CE4: 863D3DFF FFFEFFFF
	v_cndmask_b32_e64 v58, v58, v159, s[60:61]                 // 000000006CEC: D100003A 00F33F3A
	s_lshl_b32 s60, s60, 1                                     // 000000006CF4: 8E3C813C
	s_lshl_b32 s61, s61, 1                                     // 000000006CF8: 8E3D813D
	s_and_b32 s60, 0xfffeffff, s60                             // 000000006CFC: 863C3CFF FFFEFFFF
	s_and_b32 s61, 0xfffeffff, s61                             // 000000006D04: 863D3DFF FFFEFFFF
	v_cndmask_b32_e64 v59, v59, v159, s[60:61]                 // 000000006D0C: D100003B 00F33F3B
	s_branch label_0B4B                                        // 000000006D14: BF820005

0000000000006d18 <label_0B46>:
	v_mov_b32_e32 v56, v159                                    // 000000006D18: 7E70039F
	v_mov_b32_e32 v57, v159                                    // 000000006D1C: 7E72039F
	v_mov_b32_e32 v58, v159                                    // 000000006D20: 7E74039F
	v_mov_b32_e32 v59, v159                                    // 000000006D24: 7E76039F
	s_branch label_0B4B                                        // 000000006D28: BF820000

0000000000006d2c <label_0B4B>:
	s_cmp_lt_i32 s84, 64                                       // 000000006D2C: BF04C054
	s_cbranch_scc0 label_0B5C                                  // 000000006D30: BF84000F
	v_and_b32_e32 v28, 15, v0                                  // 000000006D34: 2638008F
	v_mul_i32_i24_e64 v29, s46, 16                             // 000000006D38: D106001D 0001202E
	v_add_u32_e32 v28, v28, v29                                // 000000006D40: 68383B1C
	v_cmp_lt_u32_e64 s[60:61], v28, s84                        // 000000006D44: D0C9003C 0000A91C
	s_nop 1                                                    // 000000006D4C: BF800001
	v_cndmask_b32_e64 v56, v159, v56, s[60:61]                 // 000000006D50: D1000038 00F2719F
	v_cndmask_b32_e64 v57, v159, v57, s[60:61]                 // 000000006D58: D1000039 00F2739F
	v_cndmask_b32_e64 v58, v159, v58, s[60:61]                 // 000000006D60: D100003A 00F2759F
	v_cndmask_b32_e64 v59, v159, v59, s[60:61]                 // 000000006D68: D100003B 00F2779F

0000000000006d70 <label_0B5C>:
	s_addk_i32 s74, 0x1                                        // 000000006D70: B74A0001
	s_waitcnt lgkmcnt(6)                                       // 000000006D74: BF8CC67F
	s_barrier                                                  // 000000006D78: BF8A0000
	v_mfma_f32_16x16x16_bf16 v[64:67], v[80:81], a[48:49], 0   // 000000006D7C: D3E10040 12026150
	v_fma_f32 v56, v56, s57, -v128                             // 000000006D84: D1CB0038 86007338
	v_fma_f32 v57, v57, s57, -v129                             // 000000006D8C: D1CB0039 86047339
	v_fma_f32 v58, v58, s57, -v130                             // 000000006D94: D1CB003A 8608733A
	v_fma_f32 v59, v59, s57, -v131                             // 000000006D9C: D1CB003B 860C733B
	v_mfma_f32_16x16x16_bf16 v[64:67], v[82:83], a[50:51], v[64:67]// 000000006DA4: D3E10040 15026552
	ds_read_b128 a[72:75], v12 offset:6528                     // 000000006DAC: DBFE1980 4800000C
	ds_read_b128 a[76:79], v12 offset:7040                     // 000000006DB4: DBFE1B80 4C00000C
	ds_write_b32 v11, v38                                      // 000000006DBC: D81A0000 0000260B
	ds_write_b32 v11, v39 offset:1056                          // 000000006DC4: D81A0420 0000270B
	v_mfma_f32_16x16x16_bf16 v[64:67], v[84:85], a[52:53], v[64:67]// 000000006DCC: D3E10040 15026954
	v_exp_f32_e32 v56, v56                                     // 000000006DD4: 7E704138
	v_mfma_f32_16x16x16_bf16 v[64:67], v[86:87], a[54:55], v[64:67]// 000000006DD8: D3E10040 15026D56
	ds_read_b128 a[80:83], v12 offset:8704                     // 000000006DE0: DBFE2200 5000000C
	ds_read_b128 a[84:87], v12 offset:9216                     // 000000006DE8: DBFE2400 5400000C
	ds_write_b32 v11, v40 offset:2176                          // 000000006DF0: D81A0880 0000280B
	v_mfma_f32_16x16x16_bf16 v[64:67], v[88:89], a[56:57], v[64:67]// 000000006DF8: D3E10040 15027158
	v_exp_f32_e32 v57, v57                                     // 000000006E00: 7E724139
	v_mfma_f32_16x16x16_bf16 v[64:67], v[90:91], a[58:59], v[64:67]// 000000006E04: D3E10040 1502755A
	ds_read_b128 a[88:91], v12 offset:10880                    // 000000006E0C: DBFE2A80 5800000C
	ds_read_b128 a[92:95], v12 offset:11392                    // 000000006E14: DBFE2C80 5C00000C
	ds_write_b32 v11, v41 offset:3232                          // 000000006E1C: D81A0CA0 0000290B
	v_mfma_f32_16x16x16_bf16 v[64:67], v[92:93], a[60:61], v[64:67]// 000000006E24: D3E10040 1502795C
	v_exp_f32_e32 v58, v58                                     // 000000006E2C: 7E74413A
	v_mfma_f32_16x16x16_bf16 v[64:67], v[94:95], a[62:63], v[64:67]// 000000006E30: D3E10040 15027D5E
	ds_read_b64 v[144:145], v19 offset:28416                   // 000000006E38: D8EC6F00 90000013
	ds_read_b64 v[146:147], v19 offset:30464                   // 000000006E40: D8EC7700 92000013
	ds_read_b64 v[148:149], v19 offset:32512                   // 000000006E48: D8EC7F00 94000013
	ds_write_b32 v11, v42 offset:4352                          // 000000006E50: D81A1100 00002A0B
	v_mfma_f32_16x16x16_bf16 v[64:67], v[96:97], a[64:65], v[64:67]// 000000006E58: D3E10040 15028160
	v_exp_f32_e32 v59, v59                                     // 000000006E60: 7E76413B
	v_mfma_f32_16x16x16_bf16 v[64:67], v[98:99], a[66:67], v[64:67]// 000000006E64: D3E10040 15028562
	ds_read_b64 v[150:151], v19 offset:34560                   // 000000006E6C: D8EC8700 96000013
	ds_read_b64 v[152:153], v19 offset:36608                   // 000000006E74: D8EC8F00 98000013
	ds_read_b64 v[154:155], v19 offset:38656                   // 000000006E7C: D8EC9700 9A000013
	ds_write_b32 v11, v43 offset:5408                          // 000000006E84: D81A1520 00002B0B
	v_mfma_f32_16x16x16_bf16 v[64:67], v[100:101], a[68:69], v[64:67]// 000000006E8C: D3E10040 15028964
	v_cmp_u_f32_e64 s[78:79], v56, v56                         // 000000006E94: D048004E 00027138
	v_bfe_u32 v208, v56, 16, 1                                 // 000000006E9C: D1C800D0 02052138
	v_add3_u32 v208, v56, v208, v211                           // 000000006EA4: D1FF00D0 074FA138
	v_cndmask_b32_e64 v28, v208, v210, s[78:79]                // 000000006EAC: D100001C 013BA5D0
	v_lshrrev_b32_e32 v28, 16, v28                             // 000000006EB4: 20383890
	v_cmp_u_f32_e64 s[78:79], v57, v57                         // 000000006EB8: D048004E 00027339
	v_bfe_u32 v208, v57, 16, 1                                 // 000000006EC0: D1C800D0 02052139
	v_add3_u32 v208, v57, v208, v211                           // 000000006EC8: D1FF00D0 074FA139
	v_cndmask_b32_e64 v29, v208, v210, s[78:79]                // 000000006ED0: D100001D 013BA5D0
	v_and_or_b32 v156, v29, v209, v28                          // 000000006ED8: D201009C 0473A31D
	v_mfma_f32_16x16x16_bf16 v[64:67], v[102:103], a[70:71], v[64:67]// 000000006EE0: D3E10040 15028D66
	v_cmp_u_f32_e64 s[78:79], v58, v58                         // 000000006EE8: D048004E 0002753A
	v_bfe_u32 v208, v58, 16, 1                                 // 000000006EF0: D1C800D0 0205213A
	v_add3_u32 v208, v58, v208, v211                           // 000000006EF8: D1FF00D0 074FA13A
	v_cndmask_b32_e64 v28, v208, v210, s[78:79]                // 000000006F00: D100001C 013BA5D0
	v_lshrrev_b32_e32 v28, 16, v28                             // 000000006F08: 20383890
	v_cmp_u_f32_e64 s[78:79], v59, v59                         // 000000006F0C: D048004E 0002773B
	v_bfe_u32 v208, v59, 16, 1                                 // 000000006F14: D1C800D0 0205213B
	v_add3_u32 v208, v59, v208, v211                           // 000000006F1C: D1FF00D0 074FA13B
	v_cndmask_b32_e64 v29, v208, v210, s[78:79]                // 000000006F24: D100001D 013BA5D0
	v_and_or_b32 v157, v29, v209, v28                          // 000000006F2C: D201009D 0473A31D
	v_add_u32_e32 v7, s66, v7                                  // 000000006F34: 680E0E42
	v_add_u32_e32 v8, s66, v8                                  // 000000006F38: 68101042
	s_waitcnt lgkmcnt(0)                                       // 000000006F3C: BF8CC07F
	s_barrier                                                  // 000000006F40: BF8A0000
	v_mfma_f32_16x16x16_bf16 v[160:163], v[104:105], v[156:157], v[160:163]// 000000006F44: D3E100A0 06833968
	v_subrev_f32_dpp v64, v158, v64 quad_perm:[0,0,0,0] row_mask:0xf bank_mask:0xf// 000000006F4C: 068080FA FF00009E
	v_subrev_f32_dpp v65, v158, v65 quad_perm:[1,1,1,1] row_mask:0xf bank_mask:0xf// 000000006F54: 068282FA FF00559E
	buffer_atomic_add_f32 v144, v7, s[32:35], 0 offen          // 000000006F5C: E1341000 80089007
	v_mfma_f32_16x16x16_bf16 v[164:167], v[106:107], v[156:157], v[164:167]// 000000006F64: D3E100A4 0693396A
	v_subrev_f32_dpp v66, v158, v66 quad_perm:[2,2,2,2] row_mask:0xf bank_mask:0xf// 000000006F6C: 068484FA FF00AA9E
	v_subrev_f32_dpp v67, v158, v67 quad_perm:[3,3,3,3] row_mask:0xf bank_mask:0xf// 000000006F74: 068686FA FF00FF9E
	buffer_atomic_add_f32 v145, v8, s[32:35], 0 offen          // 000000006F7C: E1341000 80089108
	v_mfma_f32_16x16x16_bf16 v[168:171], v[108:109], v[156:157], v[168:171]// 000000006F84: D3E100A8 06A3396C
	v_mul_f32_e32 v64, v56, v64                                // 000000006F8C: 0A808138
	v_mul_f32_e32 v65, v57, v65                                // 000000006F90: 0A828339
	buffer_atomic_add_f32 v146, v7, s[32:35], 0 offen offset:128// 000000006F94: E1341080 80089207
	v_mfma_f32_16x16x16_bf16 v[172:175], v[110:111], v[156:157], v[172:175]// 000000006F9C: D3E100AC 06B3396E
	v_mul_f32_e32 v66, v58, v66                                // 000000006FA4: 0A84853A
	v_mul_f32_e32 v67, v59, v67                                // 000000006FA8: 0A86873B
	buffer_atomic_add_f32 v147, v8, s[32:35], 0 offen offset:128// 000000006FAC: E1341080 80089308
	v_mfma_f32_16x16x16_bf16 v[176:179], v[112:113], v[156:157], v[176:179]// 000000006FB4: D3E100B0 06C33970
	v_cmp_u_f32_e64 s[78:79], v64, v64                         // 000000006FBC: D048004E 00028140
	v_bfe_u32 v208, v64, 16, 1                                 // 000000006FC4: D1C800D0 02052140
	v_add3_u32 v208, v64, v208, v211                           // 000000006FCC: D1FF00D0 074FA140
	v_cndmask_b32_e64 v28, v208, v210, s[78:79]                // 000000006FD4: D100001C 013BA5D0
	v_lshrrev_b32_e32 v28, 16, v28                             // 000000006FDC: 20383890
	v_cmp_u_f32_e64 s[78:79], v65, v65                         // 000000006FE0: D048004E 00028341
	v_bfe_u32 v208, v65, 16, 1                                 // 000000006FE8: D1C800D0 02052141
	v_add3_u32 v208, v65, v208, v211                           // 000000006FF0: D1FF00D0 074FA141
	v_cndmask_b32_e64 v29, v208, v210, s[78:79]                // 000000006FF8: D100001D 013BA5D0
	v_and_or_b32 v64, v29, v209, v28                           // 000000007000: D2010040 0473A31D
	v_mfma_f32_16x16x16_bf16 v[180:183], v[114:115], v[156:157], v[180:183]// 000000007008: D3E100B4 06D33972
	v_cmp_u_f32_e64 s[78:79], v66, v66                         // 000000007010: D048004E 00028542
	v_bfe_u32 v208, v66, 16, 1                                 // 000000007018: D1C800D0 02052142
	v_add3_u32 v208, v66, v208, v211                           // 000000007020: D1FF00D0 074FA142
	v_cndmask_b32_e64 v28, v208, v210, s[78:79]                // 000000007028: D100001C 013BA5D0
	v_lshrrev_b32_e32 v28, 16, v28                             // 000000007030: 20383890
	v_cmp_u_f32_e64 s[78:79], v67, v67                         // 000000007034: D048004E 00028743
	v_bfe_u32 v208, v67, 16, 1                                 // 00000000703C: D1C800D0 02052143
	v_add3_u32 v208, v67, v208, v211                           // 000000007044: D1FF00D0 074FA143
	v_cndmask_b32_e64 v29, v208, v210, s[78:79]                // 00000000704C: D100001D 013BA5D0
	v_and_or_b32 v65, v29, v209, v28                           // 000000007054: D2010041 0473A31D
	v_mfma_f32_16x16x16_bf16 v[184:187], v[116:117], v[156:157], v[184:187]// 00000000705C: D3E100B8 06E33974
	v_mov_b32_dpp v16, v64 quad_perm:[1,0,3,2] row_mask:0xf bank_mask:0xf// 000000007064: 7E2002FA FF00B140
	v_perm_b32 v56, v16, v64, v15                              // 00000000706C: D1ED0038 043E8110
	buffer_atomic_add_f32 v148, v7, s[32:35], 0 offen offset:256// 000000007074: E1341100 80089407
	v_mfma_f32_16x16x16_bf16 v[188:191], v[118:119], v[156:157], v[188:191]// 00000000707C: D3E100BC 06F33976
	v_mov_b32_dpp v16, v65 quad_perm:[1,0,3,2] row_mask:0xf bank_mask:0xf// 000000007084: 7E2002FA FF00B141
	v_perm_b32 v57, v16, v65, v15                              // 00000000708C: D1ED0039 043E8310
	buffer_atomic_add_f32 v149, v8, s[32:35], 0 offen offset:256// 000000007094: E1341100 80089508
	v_mfma_f32_16x16x16_bf16 v[192:195], v[120:121], v[156:157], v[192:195]// 00000000709C: D3E100C0 07033978
	ds_write_b32 v13, v68 offset:6528                          // 0000000070A4: D81A1980 0000440D
	ds_write_b32 v13, v69 offset:7584                          // 0000000070AC: D81A1DA0 0000450D
	v_mfma_f32_16x16x16_bf16 v[196:199], v[122:123], v[156:157], v[196:199]// 0000000070B4: D3E100C4 0713397A
	ds_write_b32 v18, v56 offset:26112                         // 0000000070BC: D81A6600 00003812
	ds_write_b32 v18, v57 offset:26656                         // 0000000070C4: D81A6820 00003912
	v_mfma_f32_16x16x16_bf16 v[200:203], v[124:125], v[156:157], v[200:203]// 0000000070CC: D3E100C8 0723397C
	ds_write_b32 v13, v70 offset:8704                          // 0000000070D4: D81A2200 0000460D
	ds_write_b32 v13, v71 offset:9760                          // 0000000070DC: D81A2620 0000470D
	v_mfma_f32_16x16x16_bf16 v[204:207], v[126:127], v[156:157], v[204:207]// 0000000070E4: D3E100CC 0733397E
	ds_write_b32 v13, v72 offset:10880                         // 0000000070EC: D81A2A80 0000480D
	ds_write_b32 v13, v73 offset:11936                         // 0000000070F4: D81A2EA0 0000490D
	s_barrier                                                  // 0000000070FC: BF8A0000
	v_mfma_f32_16x16x16_bf16 a[96:99], a[72:73], v[64:65], a[96:99]// 000000007100: D3E18060 0D828148
	ds_read_b32 v128, v21 offset:41216                         // 000000007108: D86CA100 80000015
	ds_read_b32 v158, v21 offset:41472                         // 000000007110: D86CA200 9E000015
	v_mfma_f32_16x16x16_bf16 a[100:103], a[74:75], v[64:65], a[100:103]// 000000007118: D3E18064 0D92814A
	buffer_atomic_add_f32 v150, v7, s[32:35], 0 offen offset:384// 000000007120: E1341180 80089607
	buffer_atomic_add_f32 v151, v8, s[32:35], 0 offen offset:384// 000000007128: E1341180 80089708
	v_mfma_f32_16x16x16_bf16 a[104:107], a[76:77], v[64:65], a[104:107]// 000000007130: D3E18068 0DA2814C
	s_waitcnt lgkmcnt(6)                                       // 000000007138: BF8CC67F
	s_barrier                                                  // 00000000713C: BF8A0000
	v_mfma_f32_16x16x16_bf16 a[108:111], a[78:79], v[64:65], a[108:111]// 000000007140: D3E1806C 0DB2814E
	s_mov_b64 exec, s[44:45]                                   // 000000007148: BEFE012C
	buffer_atomic_add_f32 v152, v7, s[32:35], 0 offen offset:512// 00000000714C: E1341200 80089807
	s_mov_b32 exec_lo, -1                                      // 000000007154: BEFE00C1
	s_mov_b32 exec_hi, -1                                      // 000000007158: BEFF00C1
	v_mfma_f32_16x16x16_bf16 a[112:115], a[80:81], v[64:65], a[112:115]// 00000000715C: D3E18070 0DC28150
	ds_read_b128 v[56:59], v17 offset:26112                    // 000000007164: D9FE6600 38000011
	v_mfma_f32_16x16x16_bf16 a[116:119], a[82:83], v[64:65], a[116:119]// 00000000716C: D3E18074 0DD28152
	s_mov_b64 exec, s[44:45]                                   // 000000007174: BEFE012C
	buffer_atomic_add_f32 v153, v8, s[32:35], 0 offen offset:512// 000000007178: E1341200 80089908
	s_mov_b32 exec_lo, -1                                      // 000000007180: BEFE00C1
	s_mov_b32 exec_hi, -1                                      // 000000007184: BEFF00C1
	v_mfma_f32_16x16x16_bf16 a[120:123], a[84:85], v[64:65], a[120:123]// 000000007188: D3E18078 0DE28154
	ds_read_b128 v[60:63], v17 offset:27264                    // 000000007190: D9FE6A80 3C000011
	v_mfma_f32_16x16x16_bf16 a[124:127], a[86:87], v[64:65], a[124:127]// 000000007198: D3E1807C 0DF28156
	s_mov_b64 exec, s[92:93]                                   // 0000000071A0: BEFE015C
	buffer_atomic_add_f32 v154, v7, s[32:35], 0 offen offset:640// 0000000071A4: E1341280 80089A07
	s_mov_b32 exec_lo, -1                                      // 0000000071AC: BEFE00C1
	s_mov_b32 exec_hi, -1                                      // 0000000071B0: BEFF00C1
	v_mfma_f32_16x16x16_bf16 a[128:131], a[88:89], v[64:65], a[128:131]// 0000000071B4: D3E18080 0E028158
	ds_write_b32 v13, v74 offset:19584                         // 0000000071BC: D81A4C80 00004A0D
	ds_write_b32 v13, v75 offset:20640                         // 0000000071C4: D81A50A0 00004B0D
	v_mfma_f32_16x16x16_bf16 a[132:135], a[90:91], v[64:65], a[132:135]// 0000000071CC: D3E18084 0E12815A
	s_mov_b64 exec, s[92:93]                                   // 0000000071D4: BEFE015C
	buffer_atomic_add_f32 v155, v8, s[32:35], 0 offen offset:640// 0000000071D8: E1341280 80089B08
	s_mov_b32 exec_lo, -1                                      // 0000000071E0: BEFE00C1
	s_mov_b32 exec_hi, -1                                      // 0000000071E4: BEFF00C1
	v_mfma_f32_16x16x16_bf16 a[136:139], a[92:93], v[64:65], a[136:139]// 0000000071E8: D3E18088 0E22815C
	ds_write_b32 v13, v76 offset:21760                         // 0000000071F0: D81A5500 00004C0D
	ds_write_b32 v13, v77 offset:22816                         // 0000000071F8: D81A5920 00004D0D
	v_mfma_f32_16x16x16_bf16 a[140:143], a[94:95], v[64:65], a[140:143]// 000000007200: D3E1808C 0E32815E
	ds_write_b32 v13, v78 offset:23936                         // 000000007208: D81A5D80 00004E0D
	ds_write_b32 v13, v79 offset:24992                         // 000000007210: D81A61A0 00004F0D
	s_waitcnt vmcnt(12) lgkmcnt(6)                             // 000000007218: BF8C067C
	s_barrier                                                  // 00000000721C: BF8A0000
	v_mfma_f32_16x16x16_bf16 v[132:135], v[56:57], a[24:25], 0 // 000000007220: D3E10084 12023138
	ds_read_b128 a[72:75], v10                                 // 000000007228: DBFE0000 4800000A
	ds_read_b128 a[76:79], v10 offset:512                      // 000000007230: DBFE0200 4C00000A
	ds_read_b128 a[80:83], v10 offset:2176                     // 000000007238: DBFE0880 5000000A
	buffer_load_dword v38, v1, s[8:11], 0 idxen                // 000000007240: E0502000 80022601
	buffer_load_dword v39, v2, s[8:11], 0 idxen                // 000000007248: E0502000 80022702
	v_mfma_f32_16x16x16_bf16 v[132:135], v[58:59], a[30:31], v[132:135]// 000000007250: D3E10084 16123D3A
	v_mul_f32_e32 v128, s48, v128                              // 000000007258: 0B010030
	v_perm_b32 v68, v33, v32, s63                              // 00000000725C: D1ED0044 00FE4121
	v_perm_b32 v69, v33, v32, s64                              // 000000007264: D1ED0045 01024121
	v_perm_b32 v70, v35, v34, s63                              // 00000000726C: D1ED0046 00FE4523
	v_mfma_f32_16x16x16_bf16 v[132:135], v[60:61], a[36:37], v[132:135]// 000000007274: D3E10084 1612493C
	ds_read_b128 a[84:87], v10 offset:2688                     // 00000000727C: DBFE0A80 5400000A
	ds_read_b128 a[88:91], v10 offset:4352                     // 000000007284: DBFE1100 5800000A
	ds_read_b128 a[92:95], v10 offset:4864                     // 00000000728C: DBFE1300 5C00000A
	buffer_load_dword v40, v1, s[8:11], 0 idxen offset:128     // 000000007294: E0502080 80022801
	buffer_load_dword v41, v2, s[8:11], 0 idxen offset:128     // 00000000729C: E0502080 80022902
	v_mfma_f32_16x16x16_bf16 v[132:135], v[62:63], a[42:43], v[132:135]// 0000000072A4: D3E10084 1612553E
	v_perm_b32 v71, v35, v34, s64                              // 0000000072AC: D1ED0047 01024523
	v_perm_b32 v72, v37, v36, s63                              // 0000000072B4: D1ED0048 00FE4925
	v_perm_b32 v73, v37, v36, s64                              // 0000000072BC: D1ED0049 01024925
	v_mfma_f32_16x16x16_bf16 v[136:139], v[56:57], a[26:27], 0 // 0000000072C4: D3E10088 12023538
	ds_read_b128 v[80:83], v10 offset:13056                    // 0000000072CC: D9FE3300 5000000A
	ds_read_b128 v[84:87], v10 offset:13568                    // 0000000072D4: D9FE3500 5400000A
	ds_read_b128 v[88:91], v10 offset:15232                    // 0000000072DC: D9FE3B80 5800000A
	buffer_load_dword v50, v212, s[20:23], 0 idxen             // 0000000072E4: E0502000 800532D4
	buffer_load_dword v51, v213, s[20:23], 0 idxen             // 0000000072EC: E0502000 800533D5
	v_mfma_f32_16x16x16_bf16 v[136:139], v[58:59], a[32:33], v[136:139]// 0000000072F4: D3E10088 1622413A
	v_perm_b32 v74, v45, v44, s63                              // 0000000072FC: D1ED004A 00FE592D
	v_perm_b32 v75, v45, v44, s64                              // 000000007304: D1ED004B 0102592D
	v_perm_b32 v76, v47, v46, s63                              // 00000000730C: D1ED004C 00FE5D2F
	v_mov_b32_dpp v131, v128 quad_perm:[3,3,3,3] row_mask:0xf bank_mask:0xf// 000000007314: 7F0602FA FF00FF80
	v_mov_b32_dpp v130, v128 quad_perm:[2,2,2,2] row_mask:0xf bank_mask:0xf// 00000000731C: 7F0402FA FF00AA80
	v_mfma_f32_16x16x16_bf16 v[136:139], v[60:61], a[38:39], v[136:139]// 000000007324: D3E10088 16224D3C
	ds_read_b128 v[92:95], v10 offset:15744                    // 00000000732C: D9FE3D80 5C00000A
	ds_read_b128 v[96:99], v10 offset:17408                    // 000000007334: D9FE4400 6000000A
	ds_read_b128 v[100:103], v10 offset:17920                  // 00000000733C: D9FE4600 6400000A
	buffer_load_dword v52, v212, s[20:23], 0 idxen offset:128  // 000000007344: E0502080 800534D4
	buffer_load_dword v53, v213, s[20:23], 0 idxen offset:128  // 00000000734C: E0502080 800535D5
	v_mfma_f32_16x16x16_bf16 v[136:139], v[62:63], a[44:45], v[136:139]// 000000007354: D3E10088 1622593E
	v_perm_b32 v77, v47, v46, s64                              // 00000000735C: D1ED004D 01025D2F
	v_perm_b32 v78, v49, v48, s63                              // 000000007364: D1ED004E 00FE6131
	v_perm_b32 v79, v49, v48, s64                              // 00000000736C: D1ED004F 01026131
	v_mov_b32_dpp v129, v128 quad_perm:[1,1,1,1] row_mask:0xf bank_mask:0xf// 000000007374: 7F0202FA FF005580
	v_mov_b32_dpp v128, v128 quad_perm:[0,0,0,0] row_mask:0xf bank_mask:0xf// 00000000737C: 7F0002FA FF000080
	v_mfma_f32_16x16x16_bf16 v[140:143], v[56:57], a[28:29], 0 // 000000007384: D3E1008C 12023938
	buffer_load_dword v9, s[24:27], 0 idxen lds                // 00000000738C: E0512000 80060009
	v_mov_b32_e32 v42, 0                                       // 000000007394: 7E540280
	s_mov_b64 exec, s[82:83]                                   // 000000007398: BEFE0152
	buffer_load_dword v42, v1, s[8:11], 0 idxen offset:256     // 00000000739C: E0502100 80022A01
	s_mov_b32 exec_lo, -1                                      // 0000000073A4: BEFE00C1
	s_mov_b32 exec_hi, -1                                      // 0000000073A8: BEFF00C1
	v_mov_b32_e32 v43, 0                                       // 0000000073AC: 7E560280
	s_mov_b64 exec, s[82:83]                                   // 0000000073B0: BEFE0152
	buffer_load_dword v43, v2, s[8:11], 0 idxen offset:256     // 0000000073B4: E0502100 80022B02
	s_mov_b32 exec_lo, -1                                      // 0000000073BC: BEFE00C1
	s_mov_b32 exec_hi, -1                                      // 0000000073C0: BEFF00C1
	v_mfma_f32_16x16x16_bf16 v[140:143], v[58:59], a[34:35], v[140:143]// 0000000073C4: D3E1008C 1632453A
	s_add_u32 s60, 64, s59                                     // 0000000073CC: 803C3BC0
	s_cmp_lt_u32 s60, s58                                      // 0000000073D0: BF0A3A3C
	s_cselect_b32 s68, s68, 0                                  // 0000000073D4: 85448044
	s_cselect_b32 s100, s100, 0                                // 0000000073D8: 85648064
	s_cselect_b32 s69, s69, 0                                  // 0000000073DC: 85458045
	v_mfma_f32_16x16x16_bf16 v[140:143], v[60:61], a[40:41], v[140:143]// 0000000073E0: D3E1008C 1632513C
	v_mov_b32_e32 v54, 0                                       // 0000000073E8: 7E6C0280
	s_mov_b64 exec, s[82:83]                                   // 0000000073EC: BEFE0152
	buffer_load_dword v54, v212, s[20:23], 0 idxen offset:256  // 0000000073F0: E0502100 800536D4
	s_mov_b32 exec_lo, -1                                      // 0000000073F8: BEFE00C1
	s_mov_b32 exec_hi, -1                                      // 0000000073FC: BEFF00C1
	v_mov_b32_e32 v55, 0                                       // 000000007400: 7E6E0280
	s_mov_b64 exec, s[82:83]                                   // 000000007404: BEFE0152
	buffer_load_dword v55, v213, s[20:23], 0 idxen offset:256  // 000000007408: E0502100 800537D5
	s_mov_b32 exec_lo, -1                                      // 000000007410: BEFE00C1
	s_mov_b32 exec_hi, -1                                      // 000000007414: BEFF00C1
	v_add_u32_e32 v1, s68, v1                                  // 000000007418: 68020244
	v_add_u32_e32 v2, s68, v2                                  // 00000000741C: 68040444
	v_add_u32_e32 v212, s100, v212                             // 000000007420: 69A9A864
	v_add_u32_e32 v213, s100, v213                             // 000000007424: 69ABAA64
	s_mov_b32 m0, s80                                          // 000000007428: BEFC0050
	v_add_u32_e32 v9, s69, v9                                  // 00000000742C: 68121245
	v_mfma_f32_16x16x16_bf16 v[140:143], v[62:63], a[46:47], v[140:143]// 000000007430: D3E1008C 16325D3E
	s_cmp_ge_u32 s59, s73                                      // 000000007438: BF09493B
	s_cselect_b32 s66, s67, s66                                // 00000000743C: 85424243
	s_addk_i32 s59, 0x10                                       // 000000007440: B73B0010
	s_nop 0                                                    // 000000007444: BF800000
	s_cmp_lt_i32 s59, s58                                      // 000000007448: BF043A3B
	s_cbranch_scc0 label_0AD2                                  // 00000000744C: BF84FDBE
	s_waitcnt lgkmcnt(0)                                       // 000000007450: BF8CC07F
	s_barrier                                                  // 000000007454: BF8A0000
	v_mfma_f32_16x16x16_bf16 v[56:59], a[72:73], a[0:1], 0     // 000000007458: D3E10038 1A020148
	v_mul_f32_e32 v132, s47, v132                              // 000000007460: 0B09082F
	v_mul_f32_e32 v133, s47, v133                              // 000000007464: 0B0B0A2F
	v_mul_f32_e32 v134, s47, v134                              // 000000007468: 0B0D0C2F
	v_mul_f32_e32 v135, s47, v135                              // 00000000746C: 0B0F0E2F
	v_mfma_f32_16x16x16_bf16 v[56:59], a[74:75], a[2:3], v[56:59]// 000000007470: D3E10038 1CE2054A
	ds_write_b32 v11, v44 offset:13056                         // 000000007478: D81A3300 00002C0B
	ds_write_b32 v11, v45 offset:14112                         // 000000007480: D81A3720 00002D0B
	ds_write_b32 v11, v46 offset:15232                         // 000000007488: D81A3B80 00002E0B
	v_mfma_f32_16x16x16_bf16 v[56:59], a[76:77], a[4:5], v[56:59]// 000000007490: D3E10038 1CE2094C
	v_mul_f32_e32 v136, s47, v136                              // 000000007498: 0B11102F
	v_mul_f32_e32 v137, s47, v137                              // 00000000749C: 0B13122F
	v_mul_f32_e32 v138, s47, v138                              // 0000000074A0: 0B15142F
	v_mul_f32_e32 v139, s47, v139                              // 0000000074A4: 0B17162F
	v_mfma_f32_16x16x16_bf16 v[56:59], a[78:79], a[6:7], v[56:59]// 0000000074A8: D3E10038 1CE20D4E
	ds_write_b32 v11, v47 offset:16288                         // 0000000074B0: D81A3FA0 00002F0B
	ds_write_b32 v11, v48 offset:17408                         // 0000000074B8: D81A4400 0000300B
	ds_write_b32 v11, v49 offset:18464                         // 0000000074C0: D81A4820 0000310B
	v_mfma_f32_16x16x16_bf16 v[56:59], a[80:81], a[8:9], v[56:59]// 0000000074C8: D3E10038 1CE21150
	v_mul_f32_e32 v140, s47, v140                              // 0000000074D0: 0B19182F
	v_mul_f32_e32 v141, s47, v141                              // 0000000074D4: 0B1B1A2F
	v_mul_f32_e32 v142, s47, v142                              // 0000000074D8: 0B1D1C2F
	v_mul_f32_e32 v143, s47, v143                              // 0000000074DC: 0B1F1E2F
	v_mfma_f32_16x16x16_bf16 v[56:59], a[82:83], a[10:11], v[56:59]// 0000000074E0: D3E10038 1CE21552
	ds_write_b64 v20, v[132:133] offset:28416                  // 0000000074E8: D89A6F00 00008414
	ds_write_b64 v20, v[134:135] offset:28928                  // 0000000074F0: D89A7100 00008614
	v_mfma_f32_16x16x16_bf16 v[56:59], a[84:85], a[12:13], v[56:59]// 0000000074F8: D3E10038 1CE21954
	ds_write_b64 v20, v[136:137] offset:29440                  // 000000007500: D89A7300 00008814
	ds_write_b64 v20, v[138:139] offset:29952                  // 000000007508: D89A7500 00008A14
	v_mfma_f32_16x16x16_bf16 v[56:59], a[86:87], a[14:15], v[56:59]// 000000007510: D3E10038 1CE21D56
	ds_write_b64 v20, v[140:141] offset:30464                  // 000000007518: D89A7700 00008C14
	ds_write_b64 v20, v[142:143] offset:30976                  // 000000007520: D89A7900 00008E14
	v_mfma_f32_16x16x16_bf16 v[56:59], a[88:89], a[16:17], v[56:59]// 000000007528: D3E10038 1CE22158
	ds_read_b128 v[104:107], v12 offset:19584                  // 000000007530: D9FE4C80 6800000C
	v_mfma_f32_16x16x16_bf16 v[56:59], a[90:91], a[18:19], v[56:59]// 000000007538: D3E10038 1CE2255A
	ds_read_b128 v[108:111], v12 offset:20096                  // 000000007540: D9FE4E80 6C00000C
	v_mfma_f32_16x16x16_bf16 v[56:59], a[92:93], a[20:21], v[56:59]// 000000007548: D3E10038 1CE2295C
	ds_read_b128 v[112:115], v12 offset:21760                  // 000000007550: D9FE5500 7000000C
	ds_read_b128 v[116:119], v12 offset:22272                  // 000000007558: D9FE5700 7400000C
	v_mfma_f32_16x16x16_bf16 v[56:59], a[94:95], a[22:23], v[56:59]// 000000007560: D3E10038 1CE22D5E
	ds_read_b128 v[120:123], v12 offset:23936                  // 000000007568: D9FE5D80 7800000C
	ds_read_b128 v[124:127], v12 offset:24448                  // 000000007570: D9FE5F80 7C00000C
	s_cmp_lt_i32 s74, 4                                        // 000000007578: BF04844A
	s_cbranch_scc0 label_0D8A                                  // 00000000757C: BF84002A
	s_mov_b32 s60, 0xffe0fffe                                  // 000000007580: BEBC00FF FFE0FFFE
	s_mov_b32 s61, 0xe000fe00                                  // 000000007588: BEBD00FF E000FE00
	s_nop 0                                                    // 000000007590: BF800000
	s_cmp_lt_i32 s74, s46                                      // 000000007594: BF042E4A
	s_cbranch_scc1 label_0D85                                  // 000000007598: BF85001E
	s_cmp_eq_i32 s74, s46                                      // 00000000759C: BF002E4A
	s_cbranch_scc1 label_0D6A                                  // 0000000075A0: BF850001
	s_branch label_0D8A                                        // 0000000075A4: BF820020

00000000000075a8 <label_0D6A>:
	v_cndmask_b32_e64 v56, v56, v159, s[60:61]                 // 0000000075A8: D1000038 00F33F38
	s_lshl_b32 s60, s60, 1                                     // 0000000075B0: 8E3C813C
	s_lshl_b32 s61, s61, 1                                     // 0000000075B4: 8E3D813D
	s_and_b32 s60, 0xfffeffff, s60                             // 0000000075B8: 863C3CFF FFFEFFFF
	s_and_b32 s61, 0xfffeffff, s61                             // 0000000075C0: 863D3DFF FFFEFFFF
	v_cndmask_b32_e64 v57, v57, v159, s[60:61]                 // 0000000075C8: D1000039 00F33F39
	s_lshl_b32 s60, s60, 1                                     // 0000000075D0: 8E3C813C
	s_lshl_b32 s61, s61, 1                                     // 0000000075D4: 8E3D813D
	s_and_b32 s60, 0xfffeffff, s60                             // 0000000075D8: 863C3CFF FFFEFFFF
	s_and_b32 s61, 0xfffeffff, s61                             // 0000000075E0: 863D3DFF FFFEFFFF
	v_cndmask_b32_e64 v58, v58, v159, s[60:61]                 // 0000000075E8: D100003A 00F33F3A
	s_lshl_b32 s60, s60, 1                                     // 0000000075F0: 8E3C813C
	s_lshl_b32 s61, s61, 1                                     // 0000000075F4: 8E3D813D
	s_and_b32 s60, 0xfffeffff, s60                             // 0000000075F8: 863C3CFF FFFEFFFF
	s_and_b32 s61, 0xfffeffff, s61                             // 000000007600: 863D3DFF FFFEFFFF
	v_cndmask_b32_e64 v59, v59, v159, s[60:61]                 // 000000007608: D100003B 00F33F3B
	s_branch label_0D8A                                        // 000000007610: BF820005

0000000000007614 <label_0D85>:
	v_mov_b32_e32 v56, v159                                    // 000000007614: 7E70039F
	v_mov_b32_e32 v57, v159                                    // 000000007618: 7E72039F
	v_mov_b32_e32 v58, v159                                    // 00000000761C: 7E74039F
	v_mov_b32_e32 v59, v159                                    // 000000007620: 7E76039F
	s_branch label_0D8A                                        // 000000007624: BF820000

0000000000007628 <label_0D8A>:
	s_cmp_lt_i32 s84, 64                                       // 000000007628: BF04C054
	s_cbranch_scc0 label_0D9B                                  // 00000000762C: BF84000F
	v_and_b32_e32 v28, 15, v0                                  // 000000007630: 2638008F
	v_mul_i32_i24_e64 v29, s46, 16                             // 000000007634: D106001D 0001202E
	v_add_u32_e32 v28, v28, v29                                // 00000000763C: 68383B1C
	v_cmp_lt_u32_e64 s[60:61], v28, s84                        // 000000007640: D0C9003C 0000A91C
	s_nop 1                                                    // 000000007648: BF800001
	v_cndmask_b32_e64 v56, v159, v56, s[60:61]                 // 00000000764C: D1000038 00F2719F
	v_cndmask_b32_e64 v57, v159, v57, s[60:61]                 // 000000007654: D1000039 00F2739F
	v_cndmask_b32_e64 v58, v159, v58, s[60:61]                 // 00000000765C: D100003A 00F2759F
	v_cndmask_b32_e64 v59, v159, v59, s[60:61]                 // 000000007664: D100003B 00F2779F

000000000000766c <label_0D9B>:
	s_addk_i32 s74, 0x1                                        // 00000000766C: B74A0001
	s_waitcnt lgkmcnt(6)                                       // 000000007670: BF8CC67F
	s_barrier                                                  // 000000007674: BF8A0000
	v_mfma_f32_16x16x16_bf16 v[64:67], v[80:81], a[48:49], 0   // 000000007678: D3E10040 12026150
	v_fma_f32 v56, v56, s57, -v128                             // 000000007680: D1CB0038 86007338
	v_fma_f32 v57, v57, s57, -v129                             // 000000007688: D1CB0039 86047339
	v_fma_f32 v58, v58, s57, -v130                             // 000000007690: D1CB003A 8608733A
	v_fma_f32 v59, v59, s57, -v131                             // 000000007698: D1CB003B 860C733B
	v_mfma_f32_16x16x16_bf16 v[64:67], v[82:83], a[50:51], v[64:67]// 0000000076A0: D3E10040 15026552
	ds_read_b128 a[72:75], v12 offset:6528                     // 0000000076A8: DBFE1980 4800000C
	ds_read_b128 a[76:79], v12 offset:7040                     // 0000000076B0: DBFE1B80 4C00000C
	ds_write_b32 v11, v32                                      // 0000000076B8: D81A0000 0000200B
	ds_write_b32 v11, v33 offset:1056                          // 0000000076C0: D81A0420 0000210B
	v_mfma_f32_16x16x16_bf16 v[64:67], v[84:85], a[52:53], v[64:67]// 0000000076C8: D3E10040 15026954
	v_exp_f32_e32 v56, v56                                     // 0000000076D0: 7E704138
	v_mfma_f32_16x16x16_bf16 v[64:67], v[86:87], a[54:55], v[64:67]// 0000000076D4: D3E10040 15026D56
	ds_read_b128 a[80:83], v12 offset:8704                     // 0000000076DC: DBFE2200 5000000C
	ds_read_b128 a[84:87], v12 offset:9216                     // 0000000076E4: DBFE2400 5400000C
	ds_write_b32 v11, v34 offset:2176                          // 0000000076EC: D81A0880 0000220B
	v_mfma_f32_16x16x16_bf16 v[64:67], v[88:89], a[56:57], v[64:67]// 0000000076F4: D3E10040 15027158
	v_exp_f32_e32 v57, v57                                     // 0000000076FC: 7E724139
	v_mfma_f32_16x16x16_bf16 v[64:67], v[90:91], a[58:59], v[64:67]// 000000007700: D3E10040 1502755A
	ds_read_b128 a[88:91], v12 offset:10880                    // 000000007708: DBFE2A80 5800000C
	ds_read_b128 a[92:95], v12 offset:11392                    // 000000007710: DBFE2C80 5C00000C
	ds_write_b32 v11, v35 offset:3232                          // 000000007718: D81A0CA0 0000230B
	v_mfma_f32_16x16x16_bf16 v[64:67], v[92:93], a[60:61], v[64:67]// 000000007720: D3E10040 1502795C
	v_exp_f32_e32 v58, v58                                     // 000000007728: 7E74413A
	v_mfma_f32_16x16x16_bf16 v[64:67], v[94:95], a[62:63], v[64:67]// 00000000772C: D3E10040 15027D5E
	ds_read_b64 v[144:145], v19 offset:28416                   // 000000007734: D8EC6F00 90000013
	ds_read_b64 v[146:147], v19 offset:30464                   // 00000000773C: D8EC7700 92000013
	ds_read_b64 v[148:149], v19 offset:32512                   // 000000007744: D8EC7F00 94000013
	ds_write_b32 v11, v36 offset:4352                          // 00000000774C: D81A1100 0000240B
	v_mfma_f32_16x16x16_bf16 v[64:67], v[96:97], a[64:65], v[64:67]// 000000007754: D3E10040 15028160
	v_exp_f32_e32 v59, v59                                     // 00000000775C: 7E76413B
	v_mfma_f32_16x16x16_bf16 v[64:67], v[98:99], a[66:67], v[64:67]// 000000007760: D3E10040 15028562
	ds_read_b64 v[150:151], v19 offset:34560                   // 000000007768: D8EC8700 96000013
	ds_read_b64 v[152:153], v19 offset:36608                   // 000000007770: D8EC8F00 98000013
	ds_read_b64 v[154:155], v19 offset:38656                   // 000000007778: D8EC9700 9A000013
	ds_write_b32 v11, v37 offset:5408                          // 000000007780: D81A1520 0000250B
	v_mfma_f32_16x16x16_bf16 v[64:67], v[100:101], a[68:69], v[64:67]// 000000007788: D3E10040 15028964
	v_cmp_u_f32_e64 s[78:79], v56, v56                         // 000000007790: D048004E 00027138
	v_bfe_u32 v208, v56, 16, 1                                 // 000000007798: D1C800D0 02052138
	v_add3_u32 v208, v56, v208, v211                           // 0000000077A0: D1FF00D0 074FA138
	v_cndmask_b32_e64 v28, v208, v210, s[78:79]                // 0000000077A8: D100001C 013BA5D0
	v_lshrrev_b32_e32 v28, 16, v28                             // 0000000077B0: 20383890
	v_cmp_u_f32_e64 s[78:79], v57, v57                         // 0000000077B4: D048004E 00027339
	v_bfe_u32 v208, v57, 16, 1                                 // 0000000077BC: D1C800D0 02052139
	v_add3_u32 v208, v57, v208, v211                           // 0000000077C4: D1FF00D0 074FA139
	v_cndmask_b32_e64 v29, v208, v210, s[78:79]                // 0000000077CC: D100001D 013BA5D0
	v_and_or_b32 v156, v29, v209, v28                          // 0000000077D4: D201009C 0473A31D
	v_mfma_f32_16x16x16_bf16 v[64:67], v[102:103], a[70:71], v[64:67]// 0000000077DC: D3E10040 15028D66
	v_cmp_u_f32_e64 s[78:79], v58, v58                         // 0000000077E4: D048004E 0002753A
	v_bfe_u32 v208, v58, 16, 1                                 // 0000000077EC: D1C800D0 0205213A
	v_add3_u32 v208, v58, v208, v211                           // 0000000077F4: D1FF00D0 074FA13A
	v_cndmask_b32_e64 v28, v208, v210, s[78:79]                // 0000000077FC: D100001C 013BA5D0
	v_lshrrev_b32_e32 v28, 16, v28                             // 000000007804: 20383890
	v_cmp_u_f32_e64 s[78:79], v59, v59                         // 000000007808: D048004E 0002773B
	v_bfe_u32 v208, v59, 16, 1                                 // 000000007810: D1C800D0 0205213B
	v_add3_u32 v208, v59, v208, v211                           // 000000007818: D1FF00D0 074FA13B
	v_cndmask_b32_e64 v29, v208, v210, s[78:79]                // 000000007820: D100001D 013BA5D0
	v_and_or_b32 v157, v29, v209, v28                          // 000000007828: D201009D 0473A31D
	v_add_u32_e32 v7, s66, v7                                  // 000000007830: 680E0E42
	v_add_u32_e32 v8, s66, v8                                  // 000000007834: 68101042
	s_waitcnt lgkmcnt(0)                                       // 000000007838: BF8CC07F
	s_barrier                                                  // 00000000783C: BF8A0000
	v_mfma_f32_16x16x16_bf16 v[160:163], v[104:105], v[156:157], v[160:163]// 000000007840: D3E100A0 06833968
	v_subrev_f32_dpp v64, v158, v64 quad_perm:[0,0,0,0] row_mask:0xf bank_mask:0xf// 000000007848: 068080FA FF00009E
	v_subrev_f32_dpp v65, v158, v65 quad_perm:[1,1,1,1] row_mask:0xf bank_mask:0xf// 000000007850: 068282FA FF00559E
	buffer_atomic_add_f32 v144, v7, s[32:35], 0 offen          // 000000007858: E1341000 80089007
	v_mfma_f32_16x16x16_bf16 v[164:167], v[106:107], v[156:157], v[164:167]// 000000007860: D3E100A4 0693396A
	v_subrev_f32_dpp v66, v158, v66 quad_perm:[2,2,2,2] row_mask:0xf bank_mask:0xf// 000000007868: 068484FA FF00AA9E
	v_subrev_f32_dpp v67, v158, v67 quad_perm:[3,3,3,3] row_mask:0xf bank_mask:0xf// 000000007870: 068686FA FF00FF9E
	buffer_atomic_add_f32 v145, v8, s[32:35], 0 offen          // 000000007878: E1341000 80089108
	v_mfma_f32_16x16x16_bf16 v[168:171], v[108:109], v[156:157], v[168:171]// 000000007880: D3E100A8 06A3396C
	v_mul_f32_e32 v64, v56, v64                                // 000000007888: 0A808138
	v_mul_f32_e32 v65, v57, v65                                // 00000000788C: 0A828339
	buffer_atomic_add_f32 v146, v7, s[32:35], 0 offen offset:128// 000000007890: E1341080 80089207
	v_mfma_f32_16x16x16_bf16 v[172:175], v[110:111], v[156:157], v[172:175]// 000000007898: D3E100AC 06B3396E
	v_mul_f32_e32 v66, v58, v66                                // 0000000078A0: 0A84853A
	v_mul_f32_e32 v67, v59, v67                                // 0000000078A4: 0A86873B
	buffer_atomic_add_f32 v147, v8, s[32:35], 0 offen offset:128// 0000000078A8: E1341080 80089308
	v_mfma_f32_16x16x16_bf16 v[176:179], v[112:113], v[156:157], v[176:179]// 0000000078B0: D3E100B0 06C33970
	v_cmp_u_f32_e64 s[78:79], v64, v64                         // 0000000078B8: D048004E 00028140
	v_bfe_u32 v208, v64, 16, 1                                 // 0000000078C0: D1C800D0 02052140
	v_add3_u32 v208, v64, v208, v211                           // 0000000078C8: D1FF00D0 074FA140
	v_cndmask_b32_e64 v28, v208, v210, s[78:79]                // 0000000078D0: D100001C 013BA5D0
	v_lshrrev_b32_e32 v28, 16, v28                             // 0000000078D8: 20383890
	v_cmp_u_f32_e64 s[78:79], v65, v65                         // 0000000078DC: D048004E 00028341
	v_bfe_u32 v208, v65, 16, 1                                 // 0000000078E4: D1C800D0 02052141
	v_add3_u32 v208, v65, v208, v211                           // 0000000078EC: D1FF00D0 074FA141
	v_cndmask_b32_e64 v29, v208, v210, s[78:79]                // 0000000078F4: D100001D 013BA5D0
	v_and_or_b32 v64, v29, v209, v28                           // 0000000078FC: D2010040 0473A31D
	v_mfma_f32_16x16x16_bf16 v[180:183], v[114:115], v[156:157], v[180:183]// 000000007904: D3E100B4 06D33972
	v_cmp_u_f32_e64 s[78:79], v66, v66                         // 00000000790C: D048004E 00028542
	v_bfe_u32 v208, v66, 16, 1                                 // 000000007914: D1C800D0 02052142
	v_add3_u32 v208, v66, v208, v211                           // 00000000791C: D1FF00D0 074FA142
	v_cndmask_b32_e64 v28, v208, v210, s[78:79]                // 000000007924: D100001C 013BA5D0
	v_lshrrev_b32_e32 v28, 16, v28                             // 00000000792C: 20383890
	v_cmp_u_f32_e64 s[78:79], v67, v67                         // 000000007930: D048004E 00028743
	v_bfe_u32 v208, v67, 16, 1                                 // 000000007938: D1C800D0 02052143
	v_add3_u32 v208, v67, v208, v211                           // 000000007940: D1FF00D0 074FA143
	v_cndmask_b32_e64 v29, v208, v210, s[78:79]                // 000000007948: D100001D 013BA5D0
	v_and_or_b32 v65, v29, v209, v28                           // 000000007950: D2010041 0473A31D
	v_mfma_f32_16x16x16_bf16 v[184:187], v[116:117], v[156:157], v[184:187]// 000000007958: D3E100B8 06E33974
	v_mov_b32_dpp v16, v64 quad_perm:[1,0,3,2] row_mask:0xf bank_mask:0xf// 000000007960: 7E2002FA FF00B140
	v_perm_b32 v56, v16, v64, v15                              // 000000007968: D1ED0038 043E8110
	buffer_atomic_add_f32 v148, v7, s[32:35], 0 offen offset:256// 000000007970: E1341100 80089407
	v_mfma_f32_16x16x16_bf16 v[188:191], v[118:119], v[156:157], v[188:191]// 000000007978: D3E100BC 06F33976
	v_mov_b32_dpp v16, v65 quad_perm:[1,0,3,2] row_mask:0xf bank_mask:0xf// 000000007980: 7E2002FA FF00B141
	v_perm_b32 v57, v16, v65, v15                              // 000000007988: D1ED0039 043E8310
	buffer_atomic_add_f32 v149, v8, s[32:35], 0 offen offset:256// 000000007990: E1341100 80089508
	v_mfma_f32_16x16x16_bf16 v[192:195], v[120:121], v[156:157], v[192:195]// 000000007998: D3E100C0 07033978
	ds_write_b32 v13, v68 offset:6528                          // 0000000079A0: D81A1980 0000440D
	ds_write_b32 v13, v69 offset:7584                          // 0000000079A8: D81A1DA0 0000450D
	v_mfma_f32_16x16x16_bf16 v[196:199], v[122:123], v[156:157], v[196:199]// 0000000079B0: D3E100C4 0713397A
	ds_write_b32 v18, v56 offset:26112                         // 0000000079B8: D81A6600 00003812
	ds_write_b32 v18, v57 offset:26656                         // 0000000079C0: D81A6820 00003912
	v_mfma_f32_16x16x16_bf16 v[200:203], v[124:125], v[156:157], v[200:203]// 0000000079C8: D3E100C8 0723397C
	ds_write_b32 v13, v70 offset:8704                          // 0000000079D0: D81A2200 0000460D
	ds_write_b32 v13, v71 offset:9760                          // 0000000079D8: D81A2620 0000470D
	v_mfma_f32_16x16x16_bf16 v[204:207], v[126:127], v[156:157], v[204:207]// 0000000079E0: D3E100CC 0733397E
	ds_write_b32 v13, v72 offset:10880                         // 0000000079E8: D81A2A80 0000480D
	ds_write_b32 v13, v73 offset:11936                         // 0000000079F0: D81A2EA0 0000490D
	s_barrier                                                  // 0000000079F8: BF8A0000
	v_mfma_f32_16x16x16_bf16 a[96:99], a[72:73], v[64:65], a[96:99]// 0000000079FC: D3E18060 0D828148
	ds_read_b32 v128, v21 offset:40704                         // 000000007A04: D86C9F00 80000015
	ds_read_b32 v158, v21 offset:40960                         // 000000007A0C: D86CA000 9E000015
	v_mfma_f32_16x16x16_bf16 a[100:103], a[74:75], v[64:65], a[100:103]// 000000007A14: D3E18064 0D92814A
	buffer_atomic_add_f32 v150, v7, s[32:35], 0 offen offset:384// 000000007A1C: E1341180 80089607
	buffer_atomic_add_f32 v151, v8, s[32:35], 0 offen offset:384// 000000007A24: E1341180 80089708
	v_mfma_f32_16x16x16_bf16 a[104:107], a[76:77], v[64:65], a[104:107]// 000000007A2C: D3E18068 0DA2814C
	s_waitcnt lgkmcnt(6)                                       // 000000007A34: BF8CC67F
	s_barrier                                                  // 000000007A38: BF8A0000
	v_mfma_f32_16x16x16_bf16 a[108:111], a[78:79], v[64:65], a[108:111]// 000000007A3C: D3E1806C 0DB2814E
	s_mov_b64 exec, s[44:45]                                   // 000000007A44: BEFE012C
	buffer_atomic_add_f32 v152, v7, s[32:35], 0 offen offset:512// 000000007A48: E1341200 80089807
	s_mov_b32 exec_lo, -1                                      // 000000007A50: BEFE00C1
	s_mov_b32 exec_hi, -1                                      // 000000007A54: BEFF00C1
	v_mfma_f32_16x16x16_bf16 a[112:115], a[80:81], v[64:65], a[112:115]// 000000007A58: D3E18070 0DC28150
	ds_read_b128 v[56:59], v17 offset:26112                    // 000000007A60: D9FE6600 38000011
	v_mfma_f32_16x16x16_bf16 a[116:119], a[82:83], v[64:65], a[116:119]// 000000007A68: D3E18074 0DD28152
	s_mov_b64 exec, s[44:45]                                   // 000000007A70: BEFE012C
	buffer_atomic_add_f32 v153, v8, s[32:35], 0 offen offset:512// 000000007A74: E1341200 80089908
	s_mov_b32 exec_lo, -1                                      // 000000007A7C: BEFE00C1
	s_mov_b32 exec_hi, -1                                      // 000000007A80: BEFF00C1
	v_mfma_f32_16x16x16_bf16 a[120:123], a[84:85], v[64:65], a[120:123]// 000000007A84: D3E18078 0DE28154
	ds_read_b128 v[60:63], v17 offset:27264                    // 000000007A8C: D9FE6A80 3C000011
	v_mfma_f32_16x16x16_bf16 a[124:127], a[86:87], v[64:65], a[124:127]// 000000007A94: D3E1807C 0DF28156
	s_mov_b64 exec, s[92:93]                                   // 000000007A9C: BEFE015C
	buffer_atomic_add_f32 v154, v7, s[32:35], 0 offen offset:640// 000000007AA0: E1341280 80089A07
	s_mov_b32 exec_lo, -1                                      // 000000007AA8: BEFE00C1
	s_mov_b32 exec_hi, -1                                      // 000000007AAC: BEFF00C1
	v_mfma_f32_16x16x16_bf16 a[128:131], a[88:89], v[64:65], a[128:131]// 000000007AB0: D3E18080 0E028158
	ds_write_b32 v13, v74 offset:19584                         // 000000007AB8: D81A4C80 00004A0D
	ds_write_b32 v13, v75 offset:20640                         // 000000007AC0: D81A50A0 00004B0D
	v_mfma_f32_16x16x16_bf16 a[132:135], a[90:91], v[64:65], a[132:135]// 000000007AC8: D3E18084 0E12815A
	s_mov_b64 exec, s[92:93]                                   // 000000007AD0: BEFE015C
	buffer_atomic_add_f32 v155, v8, s[32:35], 0 offen offset:640// 000000007AD4: E1341280 80089B08
	s_mov_b32 exec_lo, -1                                      // 000000007ADC: BEFE00C1
	s_mov_b32 exec_hi, -1                                      // 000000007AE0: BEFF00C1
	v_mfma_f32_16x16x16_bf16 a[136:139], a[92:93], v[64:65], a[136:139]// 000000007AE4: D3E18088 0E22815C
	ds_write_b32 v13, v76 offset:21760                         // 000000007AEC: D81A5500 00004C0D
	ds_write_b32 v13, v77 offset:22816                         // 000000007AF4: D81A5920 00004D0D
	v_mfma_f32_16x16x16_bf16 a[140:143], a[94:95], v[64:65], a[140:143]// 000000007AFC: D3E1808C 0E32815E
	ds_write_b32 v13, v78 offset:23936                         // 000000007B04: D81A5D80 00004E0D
	ds_write_b32 v13, v79 offset:24992                         // 000000007B0C: D81A61A0 00004F0D
	s_waitcnt vmcnt(12) lgkmcnt(6)                             // 000000007B14: BF8C067C
	s_barrier                                                  // 000000007B18: BF8A0000
	v_mfma_f32_16x16x16_bf16 v[132:135], v[56:57], a[24:25], 0 // 000000007B1C: D3E10084 12023138
	ds_read_b128 a[72:75], v10                                 // 000000007B24: DBFE0000 4800000A
	ds_read_b128 a[76:79], v10 offset:512                      // 000000007B2C: DBFE0200 4C00000A
	ds_read_b128 a[80:83], v10 offset:2176                     // 000000007B34: DBFE0880 5000000A
	buffer_load_dword v32, v1, s[8:11], 0 idxen                // 000000007B3C: E0502000 80022001
	buffer_load_dword v33, v2, s[8:11], 0 idxen                // 000000007B44: E0502000 80022102
	v_mfma_f32_16x16x16_bf16 v[132:135], v[58:59], a[30:31], v[132:135]// 000000007B4C: D3E10084 16123D3A
	v_mul_f32_e32 v128, s48, v128                              // 000000007B54: 0B010030
	v_perm_b32 v68, v39, v38, s63                              // 000000007B58: D1ED0044 00FE4D27
	v_perm_b32 v69, v39, v38, s64                              // 000000007B60: D1ED0045 01024D27
	v_perm_b32 v70, v41, v40, s63                              // 000000007B68: D1ED0046 00FE5129
	v_mfma_f32_16x16x16_bf16 v[132:135], v[60:61], a[36:37], v[132:135]// 000000007B70: D3E10084 1612493C
	ds_read_b128 a[84:87], v10 offset:2688                     // 000000007B78: DBFE0A80 5400000A
	ds_read_b128 a[88:91], v10 offset:4352                     // 000000007B80: DBFE1100 5800000A
	ds_read_b128 a[92:95], v10 offset:4864                     // 000000007B88: DBFE1300 5C00000A
	buffer_load_dword v34, v1, s[8:11], 0 idxen offset:128     // 000000007B90: E0502080 80022201
	buffer_load_dword v35, v2, s[8:11], 0 idxen offset:128     // 000000007B98: E0502080 80022302
	v_mfma_f32_16x16x16_bf16 v[132:135], v[62:63], a[42:43], v[132:135]// 000000007BA0: D3E10084 1612553E
	v_perm_b32 v71, v41, v40, s64                              // 000000007BA8: D1ED0047 01025129
	v_perm_b32 v72, v43, v42, s63                              // 000000007BB0: D1ED0048 00FE552B
	v_perm_b32 v73, v43, v42, s64                              // 000000007BB8: D1ED0049 0102552B
	v_mfma_f32_16x16x16_bf16 v[136:139], v[56:57], a[26:27], 0 // 000000007BC0: D3E10088 12023538
	ds_read_b128 v[80:83], v10 offset:13056                    // 000000007BC8: D9FE3300 5000000A
	ds_read_b128 v[84:87], v10 offset:13568                    // 000000007BD0: D9FE3500 5400000A
	ds_read_b128 v[88:91], v10 offset:15232                    // 000000007BD8: D9FE3B80 5800000A
	buffer_load_dword v44, v212, s[20:23], 0 idxen             // 000000007BE0: E0502000 80052CD4
	buffer_load_dword v45, v213, s[20:23], 0 idxen             // 000000007BE8: E0502000 80052DD5
	v_mfma_f32_16x16x16_bf16 v[136:139], v[58:59], a[32:33], v[136:139]// 000000007BF0: D3E10088 1622413A
	v_perm_b32 v74, v51, v50, s63                              // 000000007BF8: D1ED004A 00FE6533
	v_perm_b32 v75, v51, v50, s64                              // 000000007C00: D1ED004B 01026533
	v_perm_b32 v76, v53, v52, s63                              // 000000007C08: D1ED004C 00FE6935
	v_mov_b32_dpp v131, v128 quad_perm:[3,3,3,3] row_mask:0xf bank_mask:0xf// 000000007C10: 7F0602FA FF00FF80
	v_mov_b32_dpp v130, v128 quad_perm:[2,2,2,2] row_mask:0xf bank_mask:0xf// 000000007C18: 7F0402FA FF00AA80
	v_mfma_f32_16x16x16_bf16 v[136:139], v[60:61], a[38:39], v[136:139]// 000000007C20: D3E10088 16224D3C
	ds_read_b128 v[92:95], v10 offset:15744                    // 000000007C28: D9FE3D80 5C00000A
	ds_read_b128 v[96:99], v10 offset:17408                    // 000000007C30: D9FE4400 6000000A
	ds_read_b128 v[100:103], v10 offset:17920                  // 000000007C38: D9FE4600 6400000A
	buffer_load_dword v46, v212, s[20:23], 0 idxen offset:128  // 000000007C40: E0502080 80052ED4
	buffer_load_dword v47, v213, s[20:23], 0 idxen offset:128  // 000000007C48: E0502080 80052FD5
	v_mfma_f32_16x16x16_bf16 v[136:139], v[62:63], a[44:45], v[136:139]// 000000007C50: D3E10088 1622593E
	v_perm_b32 v77, v53, v52, s64                              // 000000007C58: D1ED004D 01026935
	v_perm_b32 v78, v55, v54, s63                              // 000000007C60: D1ED004E 00FE6D37
	v_perm_b32 v79, v55, v54, s64                              // 000000007C68: D1ED004F 01026D37
	v_mov_b32_dpp v129, v128 quad_perm:[1,1,1,1] row_mask:0xf bank_mask:0xf// 000000007C70: 7F0202FA FF005580
	v_mov_b32_dpp v128, v128 quad_perm:[0,0,0,0] row_mask:0xf bank_mask:0xf// 000000007C78: 7F0002FA FF000080
	v_mfma_f32_16x16x16_bf16 v[140:143], v[56:57], a[28:29], 0 // 000000007C80: D3E1008C 12023938
	buffer_load_dword v9, s[24:27], 0 idxen lds                // 000000007C88: E0512000 80060009
	v_mov_b32_e32 v36, 0                                       // 000000007C90: 7E480280
	s_mov_b64 exec, s[82:83]                                   // 000000007C94: BEFE0152
	buffer_load_dword v36, v1, s[8:11], 0 idxen offset:256     // 000000007C98: E0502100 80022401
	s_mov_b32 exec_lo, -1                                      // 000000007CA0: BEFE00C1
	s_mov_b32 exec_hi, -1                                      // 000000007CA4: BEFF00C1
	v_mov_b32_e32 v37, 0                                       // 000000007CA8: 7E4A0280
	s_mov_b64 exec, s[82:83]                                   // 000000007CAC: BEFE0152
	buffer_load_dword v37, v2, s[8:11], 0 idxen offset:256     // 000000007CB0: E0502100 80022502
	s_mov_b32 exec_lo, -1                                      // 000000007CB8: BEFE00C1
	s_mov_b32 exec_hi, -1                                      // 000000007CBC: BEFF00C1
	v_mfma_f32_16x16x16_bf16 v[140:143], v[58:59], a[34:35], v[140:143]// 000000007CC0: D3E1008C 1632453A
	s_add_u32 s60, 64, s59                                     // 000000007CC8: 803C3BC0
	s_cmp_lt_u32 s60, s58                                      // 000000007CCC: BF0A3A3C
	s_cselect_b32 s68, s68, 0                                  // 000000007CD0: 85448044
	s_cselect_b32 s100, s100, 0                                // 000000007CD4: 85648064
	s_cselect_b32 s69, s69, 0                                  // 000000007CD8: 85458045
	v_mfma_f32_16x16x16_bf16 v[140:143], v[60:61], a[40:41], v[140:143]// 000000007CDC: D3E1008C 1632513C
	v_mov_b32_e32 v48, 0                                       // 000000007CE4: 7E600280
	s_mov_b64 exec, s[82:83]                                   // 000000007CE8: BEFE0152
	buffer_load_dword v48, v212, s[20:23], 0 idxen offset:256  // 000000007CEC: E0502100 800530D4
	s_mov_b32 exec_lo, -1                                      // 000000007CF4: BEFE00C1
	s_mov_b32 exec_hi, -1                                      // 000000007CF8: BEFF00C1
	v_mov_b32_e32 v49, 0                                       // 000000007CFC: 7E620280
	s_mov_b64 exec, s[82:83]                                   // 000000007D00: BEFE0152
	buffer_load_dword v49, v213, s[20:23], 0 idxen offset:256  // 000000007D04: E0502100 800531D5
	s_mov_b32 exec_lo, -1                                      // 000000007D0C: BEFE00C1
	s_mov_b32 exec_hi, -1                                      // 000000007D10: BEFF00C1
	v_add_u32_e32 v1, s68, v1                                  // 000000007D14: 68020244
	v_add_u32_e32 v2, s68, v2                                  // 000000007D18: 68040444
	v_add_u32_e32 v212, s100, v212                             // 000000007D1C: 69A9A864
	v_add_u32_e32 v213, s100, v213                             // 000000007D20: 69ABAA64
	s_mov_b32 m0, s81                                          // 000000007D24: BEFC0051
	v_add_u32_e32 v9, s69, v9                                  // 000000007D28: 68121245
	v_mfma_f32_16x16x16_bf16 v[140:143], v[62:63], a[46:47], v[140:143]// 000000007D2C: D3E1008C 16325D3E
	s_cmp_ge_u32 s59, s73                                      // 000000007D34: BF09493B
	s_cselect_b32 s66, s67, s66                                // 000000007D38: 85424243
	s_addk_i32 s59, 0x10                                       // 000000007D3C: B73B0010
	s_nop 0                                                    // 000000007D40: BF800000
	s_cmp_lt_i32 s59, s58                                      // 000000007D44: BF043A3B
	s_cbranch_scc0 label_0AD2                                  // 000000007D48: BF84FB7F
	s_branch label_0AD5                                        // 000000007D4C: BF82FB81

0000000000007d50 <label_0F54>:
	v_add_u32_e32 v7, s66, v7                                  // 000000007D50: 680E0E42
	v_add_u32_e32 v8, s66, v8                                  // 000000007D54: 68101042
	v_lshrrev_b32_e32 v28, 5, v0                               // 000000007D58: 20380085
	v_mul_i32_i24_e32 v25, 0x44, v28                           // 000000007D5C: 0C3238FF 00000044
	v_and_b32_e32 v28, 31, v0                                  // 000000007D64: 2638009F
	v_mul_i32_i24_e32 v29, 2, v28                              // 000000007D68: 0C3A3882
	v_add_u32_e32 v25, v29, v25                                // 000000007D6C: 6832331D
	s_mul_i32 s60, s46, 0x660                                  // 000000007D70: 923CFF2E 00000660
	v_add_u32_e32 v25, s60, v25                                // 000000007D78: 6832323C
	v_lshlrev_b32_e32 v25, 2, v25                              // 000000007D7C: 24323282
	v_mul_f32_e32 v132, s47, v132                              // 000000007D80: 0B09082F
	v_mul_f32_e32 v133, s47, v133                              // 000000007D84: 0B0B0A2F
	v_mul_f32_e32 v134, s47, v134                              // 000000007D88: 0B0D0C2F
	v_mul_f32_e32 v135, s47, v135                              // 000000007D8C: 0B0F0E2F
	v_mul_f32_e32 v136, s47, v136                              // 000000007D90: 0B11102F
	v_mul_f32_e32 v137, s47, v137                              // 000000007D94: 0B13122F
	v_mul_f32_e32 v138, s47, v138                              // 000000007D98: 0B15142F
	v_mul_f32_e32 v139, s47, v139                              // 000000007D9C: 0B17162F
	v_mul_f32_e32 v140, s47, v140                              // 000000007DA0: 0B19182F
	v_mul_f32_e32 v141, s47, v141                              // 000000007DA4: 0B1B1A2F
	v_mul_f32_e32 v142, s47, v142                              // 000000007DA8: 0B1D1C2F
	v_mul_f32_e32 v143, s47, v143                              // 000000007DAC: 0B1F1E2F
	ds_write_b64 v20, v[132:133] offset:28416                  // 000000007DB0: D89A6F00 00008414
	ds_write_b64 v20, v[134:135] offset:28928                  // 000000007DB8: D89A7100 00008614
	ds_write_b64 v20, v[136:137] offset:29440                  // 000000007DC0: D89A7300 00008814
	ds_write_b64 v20, v[138:139] offset:29952                  // 000000007DC8: D89A7500 00008A14
	ds_write_b64 v20, v[140:141] offset:30464                  // 000000007DD0: D89A7700 00008C14
	ds_write_b64 v20, v[142:143] offset:30976                  // 000000007DD8: D89A7900 00008E14
	s_waitcnt lgkmcnt(0)                                       // 000000007DE0: BF8CC07F
	s_barrier                                                  // 000000007DE4: BF8A0000
	ds_read_b64 v[144:145], v19 offset:28416                   // 000000007DE8: D8EC6F00 90000013
	ds_read_b64 v[146:147], v19 offset:30464                   // 000000007DF0: D8EC7700 92000013
	ds_read_b64 v[148:149], v19 offset:32512                   // 000000007DF8: D8EC7F00 94000013
	ds_read_b64 v[150:151], v19 offset:34560                   // 000000007E00: D8EC8700 96000013
	ds_read_b64 v[152:153], v19 offset:36608                   // 000000007E08: D8EC8F00 98000013
	ds_read_b64 v[154:155], v19 offset:38656                   // 000000007E10: D8EC9700 9A000013
	s_waitcnt lgkmcnt(0)                                       // 000000007E18: BF8CC07F
	s_barrier                                                  // 000000007E1C: BF8A0000
	buffer_atomic_add_f32 v144, v7, s[32:35], 0 offen          // 000000007E20: E1341000 80089007
	buffer_atomic_add_f32 v145, v8, s[32:35], 0 offen          // 000000007E28: E1341000 80089108
	buffer_atomic_add_f32 v146, v7, s[32:35], 0 offen offset:128// 000000007E30: E1341080 80089207
	buffer_atomic_add_f32 v147, v8, s[32:35], 0 offen offset:128// 000000007E38: E1341080 80089308
	buffer_atomic_add_f32 v148, v7, s[32:35], 0 offen offset:256// 000000007E40: E1341100 80089407
	buffer_atomic_add_f32 v149, v8, s[32:35], 0 offen offset:256// 000000007E48: E1341100 80089508
	buffer_atomic_add_f32 v150, v7, s[32:35], 0 offen offset:384// 000000007E50: E1341180 80089607
	buffer_atomic_add_f32 v151, v8, s[32:35], 0 offen offset:384// 000000007E58: E1341180 80089708
	s_mov_b64 exec, s[44:45]                                   // 000000007E60: BEFE012C
	buffer_atomic_add_f32 v152, v7, s[32:35], 0 offen offset:512// 000000007E64: E1341200 80089807
	s_mov_b32 exec_lo, -1                                      // 000000007E6C: BEFE00C1
	s_mov_b32 exec_hi, -1                                      // 000000007E70: BEFF00C1
	s_mov_b64 exec, s[44:45]                                   // 000000007E74: BEFE012C
	buffer_atomic_add_f32 v153, v8, s[32:35], 0 offen offset:512// 000000007E78: E1341200 80089908
	s_mov_b32 exec_lo, -1                                      // 000000007E80: BEFE00C1
	s_mov_b32 exec_hi, -1                                      // 000000007E84: BEFF00C1
	s_mov_b64 exec, s[92:93]                                   // 000000007E88: BEFE015C
	buffer_atomic_add_f32 v154, v7, s[32:35], 0 offen offset:640// 000000007E8C: E1341280 80089A07
	s_mov_b32 exec_lo, -1                                      // 000000007E94: BEFE00C1
	s_mov_b32 exec_hi, -1                                      // 000000007E98: BEFF00C1
	s_mov_b64 exec, s[92:93]                                   // 000000007E9C: BEFE015C
	buffer_atomic_add_f32 v155, v8, s[32:35], 0 offen offset:640// 000000007EA0: E1341280 80089B08
	s_mov_b32 exec_lo, -1                                      // 000000007EA8: BEFE00C1
	s_mov_b32 exec_hi, -1                                      // 000000007EAC: BEFF00C1
	v_lshrrev_b32_e32 v28, 3, v0                               // 000000007EB0: 20380083
	v_mul_i32_i24_e32 v24, 2, v28                              // 000000007EB4: 0C303882
	v_and_b32_e32 v28, 7, v0                                   // 000000007EB8: 26380087
	v_mul_i32_i24_e32 v29, 0x44, v28                           // 000000007EBC: 0C3A38FF 00000044
	v_add_u32_e32 v24, v29, v24                                // 000000007EC4: 6830311D
	s_mul_i32 s60, s46, 0x660                                  // 000000007EC8: 923CFF2E 00000660
	v_add_u32_e32 v24, s60, v24                                // 000000007ED0: 6830303C
	v_lshlrev_b32_e32 v24, 2, v24                              // 000000007ED4: 24303082
	v_and_b32_e32 v28, 7, v0                                   // 000000007ED8: 26380087
	v_mov_b32_e32 v29, s50                                     // 000000007EDC: 7E3A0232
	v_mov_b32_e32 v30, 0x80                                    // 000000007EE0: 7E3C02FF 00000080
	v_sub_u32_e32 v29, v29, v30                                // 000000007EE8: 6A3A3D1D
	v_lshrrev_b32_e32 v29, 3, v29                              // 000000007EEC: 203A3A83
	v_cmp_lt_u32_e64 s[82:83], v28, v29                        // 000000007EF0: D0C90052 00023B1C
	v_accvgpr_read_b32 v30, a96                                // 000000007EF8: D3D8401E 18000160
	v_accvgpr_read_b32 v31, a97                                // 000000007F00: D3D8401F 18000161
	v_mul_f32_e32 v30, s47, v30                                // 000000007F08: 0A3C3C2F
	v_mul_f32_e32 v31, s47, v31                                // 000000007F0C: 0A3E3E2F
	v_cmp_u_f32_e64 s[78:79], v30, v30                         // 000000007F10: D048004E 00023D1E
	v_bfe_u32 v208, v30, 16, 1                                 // 000000007F18: D1C800D0 0205211E
	v_add3_u32 v208, v30, v208, v211                           // 000000007F20: D1FF00D0 074FA11E
	v_cndmask_b32_e64 v28, v208, v210, s[78:79]                // 000000007F28: D100001C 013BA5D0
	v_lshrrev_b32_e32 v28, 16, v28                             // 000000007F30: 20383890
	v_cmp_u_f32_e64 s[78:79], v31, v31                         // 000000007F34: D048004E 00023F1F
	v_bfe_u32 v208, v31, 16, 1                                 // 000000007F3C: D1C800D0 0205211F
	v_add3_u32 v208, v31, v208, v211                           // 000000007F44: D1FF00D0 074FA11F
	v_cndmask_b32_e64 v29, v208, v210, s[78:79]                // 000000007F4C: D100001D 013BA5D0
	v_and_or_b32 v56, v29, v209, v28                           // 000000007F54: D2010038 0473A31D
	v_accvgpr_read_b32 v30, a98                                // 000000007F5C: D3D8401E 18000162
	v_accvgpr_read_b32 v31, a99                                // 000000007F64: D3D8401F 18000163
	v_mul_f32_e32 v30, s47, v30                                // 000000007F6C: 0A3C3C2F
	v_mul_f32_e32 v31, s47, v31                                // 000000007F70: 0A3E3E2F
	v_cmp_u_f32_e64 s[78:79], v30, v30                         // 000000007F74: D048004E 00023D1E
	v_bfe_u32 v208, v30, 16, 1                                 // 000000007F7C: D1C800D0 0205211E
	v_add3_u32 v208, v30, v208, v211                           // 000000007F84: D1FF00D0 074FA11E
	v_cndmask_b32_e64 v28, v208, v210, s[78:79]                // 000000007F8C: D100001C 013BA5D0
	v_lshrrev_b32_e32 v28, 16, v28                             // 000000007F94: 20383890
	v_cmp_u_f32_e64 s[78:79], v31, v31                         // 000000007F98: D048004E 00023F1F
	v_bfe_u32 v208, v31, 16, 1                                 // 000000007FA0: D1C800D0 0205211F
	v_add3_u32 v208, v31, v208, v211                           // 000000007FA8: D1FF00D0 074FA11F
	v_cndmask_b32_e64 v29, v208, v210, s[78:79]                // 000000007FB0: D100001D 013BA5D0
	v_and_or_b32 v57, v29, v209, v28                           // 000000007FB8: D2010039 0473A31D
	v_accvgpr_read_b32 v30, a100                               // 000000007FC0: D3D8401E 18000164
	v_accvgpr_read_b32 v31, a101                               // 000000007FC8: D3D8401F 18000165
	v_mul_f32_e32 v30, s47, v30                                // 000000007FD0: 0A3C3C2F
	v_mul_f32_e32 v31, s47, v31                                // 000000007FD4: 0A3E3E2F
	v_cmp_u_f32_e64 s[78:79], v30, v30                         // 000000007FD8: D048004E 00023D1E
	v_bfe_u32 v208, v30, 16, 1                                 // 000000007FE0: D1C800D0 0205211E
	v_add3_u32 v208, v30, v208, v211                           // 000000007FE8: D1FF00D0 074FA11E
	v_cndmask_b32_e64 v28, v208, v210, s[78:79]                // 000000007FF0: D100001C 013BA5D0
	v_lshrrev_b32_e32 v28, 16, v28                             // 000000007FF8: 20383890
	v_cmp_u_f32_e64 s[78:79], v31, v31                         // 000000007FFC: D048004E 00023F1F
	v_bfe_u32 v208, v31, 16, 1                                 // 000000008004: D1C800D0 0205211F
	v_add3_u32 v208, v31, v208, v211                           // 00000000800C: D1FF00D0 074FA11F
	v_cndmask_b32_e64 v29, v208, v210, s[78:79]                // 000000008014: D100001D 013BA5D0
	v_and_or_b32 v58, v29, v209, v28                           // 00000000801C: D201003A 0473A31D
	v_accvgpr_read_b32 v30, a102                               // 000000008024: D3D8401E 18000166
	v_accvgpr_read_b32 v31, a103                               // 00000000802C: D3D8401F 18000167
	v_mul_f32_e32 v30, s47, v30                                // 000000008034: 0A3C3C2F
	v_mul_f32_e32 v31, s47, v31                                // 000000008038: 0A3E3E2F
	v_cmp_u_f32_e64 s[78:79], v30, v30                         // 00000000803C: D048004E 00023D1E
	v_bfe_u32 v208, v30, 16, 1                                 // 000000008044: D1C800D0 0205211E
	v_add3_u32 v208, v30, v208, v211                           // 00000000804C: D1FF00D0 074FA11E
	v_cndmask_b32_e64 v28, v208, v210, s[78:79]                // 000000008054: D100001C 013BA5D0
	v_lshrrev_b32_e32 v28, 16, v28                             // 00000000805C: 20383890
	v_cmp_u_f32_e64 s[78:79], v31, v31                         // 000000008060: D048004E 00023F1F
	v_bfe_u32 v208, v31, 16, 1                                 // 000000008068: D1C800D0 0205211F
	v_add3_u32 v208, v31, v208, v211                           // 000000008070: D1FF00D0 074FA11F
	v_cndmask_b32_e64 v29, v208, v210, s[78:79]                // 000000008078: D100001D 013BA5D0
	v_and_or_b32 v59, v29, v209, v28                           // 000000008080: D201003B 0473A31D
	v_accvgpr_read_b32 v30, a104                               // 000000008088: D3D8401E 18000168
	v_accvgpr_read_b32 v31, a105                               // 000000008090: D3D8401F 18000169
	v_mul_f32_e32 v30, s47, v30                                // 000000008098: 0A3C3C2F
	v_mul_f32_e32 v31, s47, v31                                // 00000000809C: 0A3E3E2F
	v_cmp_u_f32_e64 s[78:79], v30, v30                         // 0000000080A0: D048004E 00023D1E
	v_bfe_u32 v208, v30, 16, 1                                 // 0000000080A8: D1C800D0 0205211E
	v_add3_u32 v208, v30, v208, v211                           // 0000000080B0: D1FF00D0 074FA11E
	v_cndmask_b32_e64 v28, v208, v210, s[78:79]                // 0000000080B8: D100001C 013BA5D0
	v_lshrrev_b32_e32 v28, 16, v28                             // 0000000080C0: 20383890
	v_cmp_u_f32_e64 s[78:79], v31, v31                         // 0000000080C4: D048004E 00023F1F
	v_bfe_u32 v208, v31, 16, 1                                 // 0000000080CC: D1C800D0 0205211F
	v_add3_u32 v208, v31, v208, v211                           // 0000000080D4: D1FF00D0 074FA11F
	v_cndmask_b32_e64 v29, v208, v210, s[78:79]                // 0000000080DC: D100001D 013BA5D0
	v_and_or_b32 v60, v29, v209, v28                           // 0000000080E4: D201003C 0473A31D
	v_accvgpr_read_b32 v30, a106                               // 0000000080EC: D3D8401E 1800016A
	v_accvgpr_read_b32 v31, a107                               // 0000000080F4: D3D8401F 1800016B
	v_mul_f32_e32 v30, s47, v30                                // 0000000080FC: 0A3C3C2F
	v_mul_f32_e32 v31, s47, v31                                // 000000008100: 0A3E3E2F
	v_cmp_u_f32_e64 s[78:79], v30, v30                         // 000000008104: D048004E 00023D1E
	v_bfe_u32 v208, v30, 16, 1                                 // 00000000810C: D1C800D0 0205211E
	v_add3_u32 v208, v30, v208, v211                           // 000000008114: D1FF00D0 074FA11E
	v_cndmask_b32_e64 v28, v208, v210, s[78:79]                // 00000000811C: D100001C 013BA5D0
	v_lshrrev_b32_e32 v28, 16, v28                             // 000000008124: 20383890
	v_cmp_u_f32_e64 s[78:79], v31, v31                         // 000000008128: D048004E 00023F1F
	v_bfe_u32 v208, v31, 16, 1                                 // 000000008130: D1C800D0 0205211F
	v_add3_u32 v208, v31, v208, v211                           // 000000008138: D1FF00D0 074FA11F
	v_cndmask_b32_e64 v29, v208, v210, s[78:79]                // 000000008140: D100001D 013BA5D0
	v_and_or_b32 v61, v29, v209, v28                           // 000000008148: D201003D 0473A31D
	v_accvgpr_read_b32 v30, a108                               // 000000008150: D3D8401E 1800016C
	v_accvgpr_read_b32 v31, a109                               // 000000008158: D3D8401F 1800016D
	v_mul_f32_e32 v30, s47, v30                                // 000000008160: 0A3C3C2F
	v_mul_f32_e32 v31, s47, v31                                // 000000008164: 0A3E3E2F
	v_cmp_u_f32_e64 s[78:79], v30, v30                         // 000000008168: D048004E 00023D1E
	v_bfe_u32 v208, v30, 16, 1                                 // 000000008170: D1C800D0 0205211E
	v_add3_u32 v208, v30, v208, v211                           // 000000008178: D1FF00D0 074FA11E
	v_cndmask_b32_e64 v28, v208, v210, s[78:79]                // 000000008180: D100001C 013BA5D0
	v_lshrrev_b32_e32 v28, 16, v28                             // 000000008188: 20383890
	v_cmp_u_f32_e64 s[78:79], v31, v31                         // 00000000818C: D048004E 00023F1F
	v_bfe_u32 v208, v31, 16, 1                                 // 000000008194: D1C800D0 0205211F
	v_add3_u32 v208, v31, v208, v211                           // 00000000819C: D1FF00D0 074FA11F
	v_cndmask_b32_e64 v29, v208, v210, s[78:79]                // 0000000081A4: D100001D 013BA5D0
	v_and_or_b32 v62, v29, v209, v28                           // 0000000081AC: D201003E 0473A31D
	v_accvgpr_read_b32 v30, a110                               // 0000000081B4: D3D8401E 1800016E
	v_accvgpr_read_b32 v31, a111                               // 0000000081BC: D3D8401F 1800016F
	v_mul_f32_e32 v30, s47, v30                                // 0000000081C4: 0A3C3C2F
	v_mul_f32_e32 v31, s47, v31                                // 0000000081C8: 0A3E3E2F
	v_cmp_u_f32_e64 s[78:79], v30, v30                         // 0000000081CC: D048004E 00023D1E
	v_bfe_u32 v208, v30, 16, 1                                 // 0000000081D4: D1C800D0 0205211E
	v_add3_u32 v208, v30, v208, v211                           // 0000000081DC: D1FF00D0 074FA11E
	v_cndmask_b32_e64 v28, v208, v210, s[78:79]                // 0000000081E4: D100001C 013BA5D0
	v_lshrrev_b32_e32 v28, 16, v28                             // 0000000081EC: 20383890
	v_cmp_u_f32_e64 s[78:79], v31, v31                         // 0000000081F0: D048004E 00023F1F
	v_bfe_u32 v208, v31, 16, 1                                 // 0000000081F8: D1C800D0 0205211F
	v_add3_u32 v208, v31, v208, v211                           // 000000008200: D1FF00D0 074FA11F
	v_cndmask_b32_e64 v29, v208, v210, s[78:79]                // 000000008208: D100001D 013BA5D0
	v_and_or_b32 v63, v29, v209, v28                           // 000000008210: D201003F 0473A31D
	v_accvgpr_read_b32 v30, a112                               // 000000008218: D3D8401E 18000170
	v_accvgpr_read_b32 v31, a113                               // 000000008220: D3D8401F 18000171
	v_mul_f32_e32 v30, s47, v30                                // 000000008228: 0A3C3C2F
	v_mul_f32_e32 v31, s47, v31                                // 00000000822C: 0A3E3E2F
	v_cmp_u_f32_e64 s[78:79], v30, v30                         // 000000008230: D048004E 00023D1E
	v_bfe_u32 v208, v30, 16, 1                                 // 000000008238: D1C800D0 0205211E
	v_add3_u32 v208, v30, v208, v211                           // 000000008240: D1FF00D0 074FA11E
	v_cndmask_b32_e64 v28, v208, v210, s[78:79]                // 000000008248: D100001C 013BA5D0
	v_lshrrev_b32_e32 v28, 16, v28                             // 000000008250: 20383890
	v_cmp_u_f32_e64 s[78:79], v31, v31                         // 000000008254: D048004E 00023F1F
	v_bfe_u32 v208, v31, 16, 1                                 // 00000000825C: D1C800D0 0205211F
	v_add3_u32 v208, v31, v208, v211                           // 000000008264: D1FF00D0 074FA11F
	v_cndmask_b32_e64 v29, v208, v210, s[78:79]                // 00000000826C: D100001D 013BA5D0
	v_and_or_b32 v64, v29, v209, v28                           // 000000008274: D2010040 0473A31D
	v_accvgpr_read_b32 v30, a114                               // 00000000827C: D3D8401E 18000172
	v_accvgpr_read_b32 v31, a115                               // 000000008284: D3D8401F 18000173
	v_mul_f32_e32 v30, s47, v30                                // 00000000828C: 0A3C3C2F
	v_mul_f32_e32 v31, s47, v31                                // 000000008290: 0A3E3E2F
	v_cmp_u_f32_e64 s[78:79], v30, v30                         // 000000008294: D048004E 00023D1E
	v_bfe_u32 v208, v30, 16, 1                                 // 00000000829C: D1C800D0 0205211E
	v_add3_u32 v208, v30, v208, v211                           // 0000000082A4: D1FF00D0 074FA11E
	v_cndmask_b32_e64 v28, v208, v210, s[78:79]                // 0000000082AC: D100001C 013BA5D0
	v_lshrrev_b32_e32 v28, 16, v28                             // 0000000082B4: 20383890
	v_cmp_u_f32_e64 s[78:79], v31, v31                         // 0000000082B8: D048004E 00023F1F
	v_bfe_u32 v208, v31, 16, 1                                 // 0000000082C0: D1C800D0 0205211F
	v_add3_u32 v208, v31, v208, v211                           // 0000000082C8: D1FF00D0 074FA11F
	v_cndmask_b32_e64 v29, v208, v210, s[78:79]                // 0000000082D0: D100001D 013BA5D0
	v_and_or_b32 v65, v29, v209, v28                           // 0000000082D8: D2010041 0473A31D
	v_accvgpr_read_b32 v30, a116                               // 0000000082E0: D3D8401E 18000174
	v_accvgpr_read_b32 v31, a117                               // 0000000082E8: D3D8401F 18000175
	v_mul_f32_e32 v30, s47, v30                                // 0000000082F0: 0A3C3C2F
	v_mul_f32_e32 v31, s47, v31                                // 0000000082F4: 0A3E3E2F
	v_cmp_u_f32_e64 s[78:79], v30, v30                         // 0000000082F8: D048004E 00023D1E
	v_bfe_u32 v208, v30, 16, 1                                 // 000000008300: D1C800D0 0205211E
	v_add3_u32 v208, v30, v208, v211                           // 000000008308: D1FF00D0 074FA11E
	v_cndmask_b32_e64 v28, v208, v210, s[78:79]                // 000000008310: D100001C 013BA5D0
	v_lshrrev_b32_e32 v28, 16, v28                             // 000000008318: 20383890
	v_cmp_u_f32_e64 s[78:79], v31, v31                         // 00000000831C: D048004E 00023F1F
	v_bfe_u32 v208, v31, 16, 1                                 // 000000008324: D1C800D0 0205211F
	v_add3_u32 v208, v31, v208, v211                           // 00000000832C: D1FF00D0 074FA11F
	v_cndmask_b32_e64 v29, v208, v210, s[78:79]                // 000000008334: D100001D 013BA5D0
	v_and_or_b32 v66, v29, v209, v28                           // 00000000833C: D2010042 0473A31D
	v_accvgpr_read_b32 v30, a118                               // 000000008344: D3D8401E 18000176
	v_accvgpr_read_b32 v31, a119                               // 00000000834C: D3D8401F 18000177
	v_mul_f32_e32 v30, s47, v30                                // 000000008354: 0A3C3C2F
	v_mul_f32_e32 v31, s47, v31                                // 000000008358: 0A3E3E2F
	v_cmp_u_f32_e64 s[78:79], v30, v30                         // 00000000835C: D048004E 00023D1E
	v_bfe_u32 v208, v30, 16, 1                                 // 000000008364: D1C800D0 0205211E
	v_add3_u32 v208, v30, v208, v211                           // 00000000836C: D1FF00D0 074FA11E
	v_cndmask_b32_e64 v28, v208, v210, s[78:79]                // 000000008374: D100001C 013BA5D0
	v_lshrrev_b32_e32 v28, 16, v28                             // 00000000837C: 20383890
	v_cmp_u_f32_e64 s[78:79], v31, v31                         // 000000008380: D048004E 00023F1F
	v_bfe_u32 v208, v31, 16, 1                                 // 000000008388: D1C800D0 0205211F
	v_add3_u32 v208, v31, v208, v211                           // 000000008390: D1FF00D0 074FA11F
	v_cndmask_b32_e64 v29, v208, v210, s[78:79]                // 000000008398: D100001D 013BA5D0
	v_and_or_b32 v67, v29, v209, v28                           // 0000000083A0: D2010043 0473A31D
	v_accvgpr_read_b32 v30, a120                               // 0000000083A8: D3D8401E 18000178
	v_accvgpr_read_b32 v31, a121                               // 0000000083B0: D3D8401F 18000179
	v_mul_f32_e32 v30, s47, v30                                // 0000000083B8: 0A3C3C2F
	v_mul_f32_e32 v31, s47, v31                                // 0000000083BC: 0A3E3E2F
	v_cmp_u_f32_e64 s[78:79], v30, v30                         // 0000000083C0: D048004E 00023D1E
	v_bfe_u32 v208, v30, 16, 1                                 // 0000000083C8: D1C800D0 0205211E
	v_add3_u32 v208, v30, v208, v211                           // 0000000083D0: D1FF00D0 074FA11E
	v_cndmask_b32_e64 v28, v208, v210, s[78:79]                // 0000000083D8: D100001C 013BA5D0
	v_lshrrev_b32_e32 v28, 16, v28                             // 0000000083E0: 20383890
	v_cmp_u_f32_e64 s[78:79], v31, v31                         // 0000000083E4: D048004E 00023F1F
	v_bfe_u32 v208, v31, 16, 1                                 // 0000000083EC: D1C800D0 0205211F
	v_add3_u32 v208, v31, v208, v211                           // 0000000083F4: D1FF00D0 074FA11F
	v_cndmask_b32_e64 v29, v208, v210, s[78:79]                // 0000000083FC: D100001D 013BA5D0
	v_and_or_b32 v68, v29, v209, v28                           // 000000008404: D2010044 0473A31D
	v_accvgpr_read_b32 v30, a122                               // 00000000840C: D3D8401E 1800017A
	v_accvgpr_read_b32 v31, a123                               // 000000008414: D3D8401F 1800017B
	v_mul_f32_e32 v30, s47, v30                                // 00000000841C: 0A3C3C2F
	v_mul_f32_e32 v31, s47, v31                                // 000000008420: 0A3E3E2F
	v_cmp_u_f32_e64 s[78:79], v30, v30                         // 000000008424: D048004E 00023D1E
	v_bfe_u32 v208, v30, 16, 1                                 // 00000000842C: D1C800D0 0205211E
	v_add3_u32 v208, v30, v208, v211                           // 000000008434: D1FF00D0 074FA11E
	v_cndmask_b32_e64 v28, v208, v210, s[78:79]                // 00000000843C: D100001C 013BA5D0
	v_lshrrev_b32_e32 v28, 16, v28                             // 000000008444: 20383890
	v_cmp_u_f32_e64 s[78:79], v31, v31                         // 000000008448: D048004E 00023F1F
	v_bfe_u32 v208, v31, 16, 1                                 // 000000008450: D1C800D0 0205211F
	v_add3_u32 v208, v31, v208, v211                           // 000000008458: D1FF00D0 074FA11F
	v_cndmask_b32_e64 v29, v208, v210, s[78:79]                // 000000008460: D100001D 013BA5D0
	v_and_or_b32 v69, v29, v209, v28                           // 000000008468: D2010045 0473A31D
	v_accvgpr_read_b32 v30, a124                               // 000000008470: D3D8401E 1800017C
	v_accvgpr_read_b32 v31, a125                               // 000000008478: D3D8401F 1800017D
	v_mul_f32_e32 v30, s47, v30                                // 000000008480: 0A3C3C2F
	v_mul_f32_e32 v31, s47, v31                                // 000000008484: 0A3E3E2F
	v_cmp_u_f32_e64 s[78:79], v30, v30                         // 000000008488: D048004E 00023D1E
	v_bfe_u32 v208, v30, 16, 1                                 // 000000008490: D1C800D0 0205211E
	v_add3_u32 v208, v30, v208, v211                           // 000000008498: D1FF00D0 074FA11E
	v_cndmask_b32_e64 v28, v208, v210, s[78:79]                // 0000000084A0: D100001C 013BA5D0
	v_lshrrev_b32_e32 v28, 16, v28                             // 0000000084A8: 20383890
	v_cmp_u_f32_e64 s[78:79], v31, v31                         // 0000000084AC: D048004E 00023F1F
	v_bfe_u32 v208, v31, 16, 1                                 // 0000000084B4: D1C800D0 0205211F
	v_add3_u32 v208, v31, v208, v211                           // 0000000084BC: D1FF00D0 074FA11F
	v_cndmask_b32_e64 v29, v208, v210, s[78:79]                // 0000000084C4: D100001D 013BA5D0
	v_and_or_b32 v70, v29, v209, v28                           // 0000000084CC: D2010046 0473A31D
	v_accvgpr_read_b32 v30, a126                               // 0000000084D4: D3D8401E 1800017E
	v_accvgpr_read_b32 v31, a127                               // 0000000084DC: D3D8401F 1800017F
	v_mul_f32_e32 v30, s47, v30                                // 0000000084E4: 0A3C3C2F
	v_mul_f32_e32 v31, s47, v31                                // 0000000084E8: 0A3E3E2F
	v_cmp_u_f32_e64 s[78:79], v30, v30                         // 0000000084EC: D048004E 00023D1E
	v_bfe_u32 v208, v30, 16, 1                                 // 0000000084F4: D1C800D0 0205211E
	v_add3_u32 v208, v30, v208, v211                           // 0000000084FC: D1FF00D0 074FA11E
	v_cndmask_b32_e64 v28, v208, v210, s[78:79]                // 000000008504: D100001C 013BA5D0
	v_lshrrev_b32_e32 v28, 16, v28                             // 00000000850C: 20383890
	v_cmp_u_f32_e64 s[78:79], v31, v31                         // 000000008510: D048004E 00023F1F
	v_bfe_u32 v208, v31, 16, 1                                 // 000000008518: D1C800D0 0205211F
	v_add3_u32 v208, v31, v208, v211                           // 000000008520: D1FF00D0 074FA11F
	v_cndmask_b32_e64 v29, v208, v210, s[78:79]                // 000000008528: D100001D 013BA5D0
	v_and_or_b32 v71, v29, v209, v28                           // 000000008530: D2010047 0473A31D
	v_accvgpr_read_b32 v30, a128                               // 000000008538: D3D8401E 18000180
	v_accvgpr_read_b32 v31, a129                               // 000000008540: D3D8401F 18000181
	v_mul_f32_e32 v30, s47, v30                                // 000000008548: 0A3C3C2F
	v_mul_f32_e32 v31, s47, v31                                // 00000000854C: 0A3E3E2F
	v_cmp_u_f32_e64 s[78:79], v30, v30                         // 000000008550: D048004E 00023D1E
	v_bfe_u32 v208, v30, 16, 1                                 // 000000008558: D1C800D0 0205211E
	v_add3_u32 v208, v30, v208, v211                           // 000000008560: D1FF00D0 074FA11E
	v_cndmask_b32_e64 v28, v208, v210, s[78:79]                // 000000008568: D100001C 013BA5D0
	v_lshrrev_b32_e32 v28, 16, v28                             // 000000008570: 20383890
	v_cmp_u_f32_e64 s[78:79], v31, v31                         // 000000008574: D048004E 00023F1F
	v_bfe_u32 v208, v31, 16, 1                                 // 00000000857C: D1C800D0 0205211F
	v_add3_u32 v208, v31, v208, v211                           // 000000008584: D1FF00D0 074FA11F
	v_cndmask_b32_e64 v29, v208, v210, s[78:79]                // 00000000858C: D100001D 013BA5D0
	v_and_or_b32 v72, v29, v209, v28                           // 000000008594: D2010048 0473A31D
	v_accvgpr_read_b32 v30, a130                               // 00000000859C: D3D8401E 18000182
	v_accvgpr_read_b32 v31, a131                               // 0000000085A4: D3D8401F 18000183
	v_mul_f32_e32 v30, s47, v30                                // 0000000085AC: 0A3C3C2F
	v_mul_f32_e32 v31, s47, v31                                // 0000000085B0: 0A3E3E2F
	v_cmp_u_f32_e64 s[78:79], v30, v30                         // 0000000085B4: D048004E 00023D1E
	v_bfe_u32 v208, v30, 16, 1                                 // 0000000085BC: D1C800D0 0205211E
	v_add3_u32 v208, v30, v208, v211                           // 0000000085C4: D1FF00D0 074FA11E
	v_cndmask_b32_e64 v28, v208, v210, s[78:79]                // 0000000085CC: D100001C 013BA5D0
	v_lshrrev_b32_e32 v28, 16, v28                             // 0000000085D4: 20383890
	v_cmp_u_f32_e64 s[78:79], v31, v31                         // 0000000085D8: D048004E 00023F1F
	v_bfe_u32 v208, v31, 16, 1                                 // 0000000085E0: D1C800D0 0205211F
	v_add3_u32 v208, v31, v208, v211                           // 0000000085E8: D1FF00D0 074FA11F
	v_cndmask_b32_e64 v29, v208, v210, s[78:79]                // 0000000085F0: D100001D 013BA5D0
	v_and_or_b32 v73, v29, v209, v28                           // 0000000085F8: D2010049 0473A31D
	v_accvgpr_read_b32 v30, a132                               // 000000008600: D3D8401E 18000184
	v_accvgpr_read_b32 v31, a133                               // 000000008608: D3D8401F 18000185
	v_mul_f32_e32 v30, s47, v30                                // 000000008610: 0A3C3C2F
	v_mul_f32_e32 v31, s47, v31                                // 000000008614: 0A3E3E2F
	v_cmp_u_f32_e64 s[78:79], v30, v30                         // 000000008618: D048004E 00023D1E
	v_bfe_u32 v208, v30, 16, 1                                 // 000000008620: D1C800D0 0205211E
	v_add3_u32 v208, v30, v208, v211                           // 000000008628: D1FF00D0 074FA11E
	v_cndmask_b32_e64 v28, v208, v210, s[78:79]                // 000000008630: D100001C 013BA5D0
	v_lshrrev_b32_e32 v28, 16, v28                             // 000000008638: 20383890
	v_cmp_u_f32_e64 s[78:79], v31, v31                         // 00000000863C: D048004E 00023F1F
	v_bfe_u32 v208, v31, 16, 1                                 // 000000008644: D1C800D0 0205211F
	v_add3_u32 v208, v31, v208, v211                           // 00000000864C: D1FF00D0 074FA11F
	v_cndmask_b32_e64 v29, v208, v210, s[78:79]                // 000000008654: D100001D 013BA5D0
	v_and_or_b32 v74, v29, v209, v28                           // 00000000865C: D201004A 0473A31D
	v_accvgpr_read_b32 v30, a134                               // 000000008664: D3D8401E 18000186
	v_accvgpr_read_b32 v31, a135                               // 00000000866C: D3D8401F 18000187
	v_mul_f32_e32 v30, s47, v30                                // 000000008674: 0A3C3C2F
	v_mul_f32_e32 v31, s47, v31                                // 000000008678: 0A3E3E2F
	v_cmp_u_f32_e64 s[78:79], v30, v30                         // 00000000867C: D048004E 00023D1E
	v_bfe_u32 v208, v30, 16, 1                                 // 000000008684: D1C800D0 0205211E
	v_add3_u32 v208, v30, v208, v211                           // 00000000868C: D1FF00D0 074FA11E
	v_cndmask_b32_e64 v28, v208, v210, s[78:79]                // 000000008694: D100001C 013BA5D0
	v_lshrrev_b32_e32 v28, 16, v28                             // 00000000869C: 20383890
	v_cmp_u_f32_e64 s[78:79], v31, v31                         // 0000000086A0: D048004E 00023F1F
	v_bfe_u32 v208, v31, 16, 1                                 // 0000000086A8: D1C800D0 0205211F
	v_add3_u32 v208, v31, v208, v211                           // 0000000086B0: D1FF00D0 074FA11F
	v_cndmask_b32_e64 v29, v208, v210, s[78:79]                // 0000000086B8: D100001D 013BA5D0
	v_and_or_b32 v75, v29, v209, v28                           // 0000000086C0: D201004B 0473A31D
	v_accvgpr_read_b32 v30, a136                               // 0000000086C8: D3D8401E 18000188
	v_accvgpr_read_b32 v31, a137                               // 0000000086D0: D3D8401F 18000189
	v_mul_f32_e32 v30, s47, v30                                // 0000000086D8: 0A3C3C2F
	v_mul_f32_e32 v31, s47, v31                                // 0000000086DC: 0A3E3E2F
	v_cmp_u_f32_e64 s[78:79], v30, v30                         // 0000000086E0: D048004E 00023D1E
	v_bfe_u32 v208, v30, 16, 1                                 // 0000000086E8: D1C800D0 0205211E
	v_add3_u32 v208, v30, v208, v211                           // 0000000086F0: D1FF00D0 074FA11E
	v_cndmask_b32_e64 v28, v208, v210, s[78:79]                // 0000000086F8: D100001C 013BA5D0
	v_lshrrev_b32_e32 v28, 16, v28                             // 000000008700: 20383890
	v_cmp_u_f32_e64 s[78:79], v31, v31                         // 000000008704: D048004E 00023F1F
	v_bfe_u32 v208, v31, 16, 1                                 // 00000000870C: D1C800D0 0205211F
	v_add3_u32 v208, v31, v208, v211                           // 000000008714: D1FF00D0 074FA11F
	v_cndmask_b32_e64 v29, v208, v210, s[78:79]                // 00000000871C: D100001D 013BA5D0
	v_and_or_b32 v76, v29, v209, v28                           // 000000008724: D201004C 0473A31D
	v_accvgpr_read_b32 v30, a138                               // 00000000872C: D3D8401E 1800018A
	v_accvgpr_read_b32 v31, a139                               // 000000008734: D3D8401F 1800018B
	v_mul_f32_e32 v30, s47, v30                                // 00000000873C: 0A3C3C2F
	v_mul_f32_e32 v31, s47, v31                                // 000000008740: 0A3E3E2F
	v_cmp_u_f32_e64 s[78:79], v30, v30                         // 000000008744: D048004E 00023D1E
	v_bfe_u32 v208, v30, 16, 1                                 // 00000000874C: D1C800D0 0205211E
	v_add3_u32 v208, v30, v208, v211                           // 000000008754: D1FF00D0 074FA11E
	v_cndmask_b32_e64 v28, v208, v210, s[78:79]                // 00000000875C: D100001C 013BA5D0
	v_lshrrev_b32_e32 v28, 16, v28                             // 000000008764: 20383890
	v_cmp_u_f32_e64 s[78:79], v31, v31                         // 000000008768: D048004E 00023F1F
	v_bfe_u32 v208, v31, 16, 1                                 // 000000008770: D1C800D0 0205211F
	v_add3_u32 v208, v31, v208, v211                           // 000000008778: D1FF00D0 074FA11F
	v_cndmask_b32_e64 v29, v208, v210, s[78:79]                // 000000008780: D100001D 013BA5D0
	v_and_or_b32 v77, v29, v209, v28                           // 000000008788: D201004D 0473A31D
	v_accvgpr_read_b32 v30, a140                               // 000000008790: D3D8401E 1800018C
	v_accvgpr_read_b32 v31, a141                               // 000000008798: D3D8401F 1800018D
	v_mul_f32_e32 v30, s47, v30                                // 0000000087A0: 0A3C3C2F
	v_mul_f32_e32 v31, s47, v31                                // 0000000087A4: 0A3E3E2F
	v_cmp_u_f32_e64 s[78:79], v30, v30                         // 0000000087A8: D048004E 00023D1E
	v_bfe_u32 v208, v30, 16, 1                                 // 0000000087B0: D1C800D0 0205211E
	v_add3_u32 v208, v30, v208, v211                           // 0000000087B8: D1FF00D0 074FA11E
	v_cndmask_b32_e64 v28, v208, v210, s[78:79]                // 0000000087C0: D100001C 013BA5D0
	v_lshrrev_b32_e32 v28, 16, v28                             // 0000000087C8: 20383890
	v_cmp_u_f32_e64 s[78:79], v31, v31                         // 0000000087CC: D048004E 00023F1F
	v_bfe_u32 v208, v31, 16, 1                                 // 0000000087D4: D1C800D0 0205211F
	v_add3_u32 v208, v31, v208, v211                           // 0000000087DC: D1FF00D0 074FA11F
	v_cndmask_b32_e64 v29, v208, v210, s[78:79]                // 0000000087E4: D100001D 013BA5D0
	v_and_or_b32 v78, v29, v209, v28                           // 0000000087EC: D201004E 0473A31D
	v_accvgpr_read_b32 v30, a142                               // 0000000087F4: D3D8401E 1800018E
	v_accvgpr_read_b32 v31, a143                               // 0000000087FC: D3D8401F 1800018F
	v_mul_f32_e32 v30, s47, v30                                // 000000008804: 0A3C3C2F
	v_mul_f32_e32 v31, s47, v31                                // 000000008808: 0A3E3E2F
	v_cmp_u_f32_e64 s[78:79], v30, v30                         // 00000000880C: D048004E 00023D1E
	v_bfe_u32 v208, v30, 16, 1                                 // 000000008814: D1C800D0 0205211E
	v_add3_u32 v208, v30, v208, v211                           // 00000000881C: D1FF00D0 074FA11E
	v_cndmask_b32_e64 v28, v208, v210, s[78:79]                // 000000008824: D100001C 013BA5D0
	v_lshrrev_b32_e32 v28, 16, v28                             // 00000000882C: 20383890
	v_cmp_u_f32_e64 s[78:79], v31, v31                         // 000000008830: D048004E 00023F1F
	v_bfe_u32 v208, v31, 16, 1                                 // 000000008838: D1C800D0 0205211F
	v_add3_u32 v208, v31, v208, v211                           // 000000008840: D1FF00D0 074FA11F
	v_cndmask_b32_e64 v29, v208, v210, s[78:79]                // 000000008848: D100001D 013BA5D0
	v_and_or_b32 v79, v29, v209, v28                           // 000000008850: D201004F 0473A31D
	ds_write_b64 v25, v[56:57]                                 // 000000008858: D89A0000 00003819
	ds_write_b64 v25, v[58:59] offset:544                      // 000000008860: D89A0220 00003A19
	ds_write_b64 v25, v[60:61] offset:1088                     // 000000008868: D89A0440 00003C19
	ds_write_b64 v25, v[62:63] offset:1632                     // 000000008870: D89A0660 00003E19
	ds_write_b64 v25, v[64:65] offset:2176                     // 000000008878: D89A0880 00004019
	ds_write_b64 v25, v[66:67] offset:2720                     // 000000008880: D89A0AA0 00004219
	ds_write_b64 v25, v[68:69] offset:3264                     // 000000008888: D89A0CC0 00004419
	ds_write_b64 v25, v[70:71] offset:3808                     // 000000008890: D89A0EE0 00004619
	ds_write_b64 v25, v[72:73] offset:4352                     // 000000008898: D89A1100 00004819
	ds_write_b64 v25, v[74:75] offset:4896                     // 0000000088A0: D89A1320 00004A19
	ds_write_b64 v25, v[76:77] offset:5440                     // 0000000088A8: D89A1540 00004C19
	ds_write_b64 v25, v[78:79] offset:5984                     // 0000000088B0: D89A1760 00004E19
	s_waitcnt lgkmcnt(0)                                       // 0000000088B8: BF8CC07F
	s_barrier                                                  // 0000000088BC: BF8A0000
	ds_read_b64 v[56:57], v24                                  // 0000000088C0: D8EC0000 38000018
	ds_read_b64 v[58:59], v24 offset:128                       // 0000000088C8: D8EC0080 3A000018
	ds_read_b64 v[60:61], v24 offset:64                        // 0000000088D0: D8EC0040 3C000018
	ds_read_b64 v[62:63], v24 offset:192                       // 0000000088D8: D8EC00C0 3E000018
	ds_read_b64 v[64:65], v24 offset:2176                      // 0000000088E0: D8EC0880 40000018
	ds_read_b64 v[66:67], v24 offset:2304                      // 0000000088E8: D8EC0900 42000018
	ds_read_b64 v[68:69], v24 offset:2240                      // 0000000088F0: D8EC08C0 44000018
	ds_read_b64 v[70:71], v24 offset:2368                      // 0000000088F8: D8EC0940 46000018
	ds_read_b64 v[72:73], v24 offset:4352                      // 000000008900: D8EC1100 48000018
	ds_read_b64 v[74:75], v24 offset:4480                      // 000000008908: D8EC1180 4A000018
	ds_read_b64 v[76:77], v24 offset:4416                      // 000000008910: D8EC1140 4C000018
	ds_read_b64 v[78:79], v24 offset:4544                      // 000000008918: D8EC11C0 4E000018
	s_waitcnt lgkmcnt(0)                                       // 000000008920: BF8CC07F
	buffer_store_dwordx4 v[56:59], v3, s[36:39], 0 idxen       // 000000008924: E07C2000 80093803
	v_add_u32_e32 v3, 32, v3                                   // 00000000892C: 680606A0
	buffer_store_dwordx4 v[60:63], v4, s[36:39], 0 idxen       // 000000008930: E07C2000 80093C04
	v_add_u32_e32 v4, 32, v4                                   // 000000008938: 680808A0
	buffer_store_dwordx4 v[64:67], v3, s[36:39], 0 idxen       // 00000000893C: E07C2000 80094003
	v_add_u32_e32 v3, 32, v3                                   // 000000008944: 680606A0
	buffer_store_dwordx4 v[68:71], v4, s[36:39], 0 idxen       // 000000008948: E07C2000 80094404
	v_add_u32_e32 v4, 32, v4                                   // 000000008950: 680808A0
	s_mov_b64 exec, s[82:83]                                   // 000000008954: BEFE0152
	buffer_store_dwordx4 v[72:75], v3, s[36:39], 0 idxen       // 000000008958: E07C2000 80094803
	s_mov_b32 exec_lo, -1                                      // 000000008960: BEFE00C1
	s_mov_b32 exec_hi, -1                                      // 000000008964: BEFF00C1
	v_add_u32_e32 v3, 32, v3                                   // 000000008968: 680606A0
	s_mov_b64 exec, s[82:83]                                   // 00000000896C: BEFE0152
	buffer_store_dwordx4 v[76:79], v4, s[36:39], 0 idxen       // 000000008970: E07C2000 80094C04
	s_mov_b32 exec_lo, -1                                      // 000000008978: BEFE00C1
	s_mov_b32 exec_hi, -1                                      // 00000000897C: BEFF00C1
	v_add_u32_e32 v4, 32, v4                                   // 000000008980: 680808A0
	s_barrier                                                  // 000000008984: BF8A0000
	v_mov_b32_e32 v30, v160                                    // 000000008988: 7E3C03A0
	v_mov_b32_e32 v31, v161                                    // 00000000898C: 7E3E03A1
	v_cmp_u_f32_e64 s[78:79], v30, v30                         // 000000008990: D048004E 00023D1E
	v_bfe_u32 v208, v30, 16, 1                                 // 000000008998: D1C800D0 0205211E
	v_add3_u32 v208, v30, v208, v211                           // 0000000089A0: D1FF00D0 074FA11E
	v_cndmask_b32_e64 v28, v208, v210, s[78:79]                // 0000000089A8: D100001C 013BA5D0
	v_lshrrev_b32_e32 v28, 16, v28                             // 0000000089B0: 20383890
	v_cmp_u_f32_e64 s[78:79], v31, v31                         // 0000000089B4: D048004E 00023F1F
	v_bfe_u32 v208, v31, 16, 1                                 // 0000000089BC: D1C800D0 0205211F
	v_add3_u32 v208, v31, v208, v211                           // 0000000089C4: D1FF00D0 074FA11F
	v_cndmask_b32_e64 v29, v208, v210, s[78:79]                // 0000000089CC: D100001D 013BA5D0
	v_and_or_b32 v160, v29, v209, v28                          // 0000000089D4: D20100A0 0473A31D
	v_mov_b32_e32 v30, v162                                    // 0000000089DC: 7E3C03A2
	v_mov_b32_e32 v31, v163                                    // 0000000089E0: 7E3E03A3
	v_cmp_u_f32_e64 s[78:79], v30, v30                         // 0000000089E4: D048004E 00023D1E
	v_bfe_u32 v208, v30, 16, 1                                 // 0000000089EC: D1C800D0 0205211E
	v_add3_u32 v208, v30, v208, v211                           // 0000000089F4: D1FF00D0 074FA11E
	v_cndmask_b32_e64 v28, v208, v210, s[78:79]                // 0000000089FC: D100001C 013BA5D0
	v_lshrrev_b32_e32 v28, 16, v28                             // 000000008A04: 20383890
	v_cmp_u_f32_e64 s[78:79], v31, v31                         // 000000008A08: D048004E 00023F1F
	v_bfe_u32 v208, v31, 16, 1                                 // 000000008A10: D1C800D0 0205211F
	v_add3_u32 v208, v31, v208, v211                           // 000000008A18: D1FF00D0 074FA11F
	v_cndmask_b32_e64 v29, v208, v210, s[78:79]                // 000000008A20: D100001D 013BA5D0
	v_and_or_b32 v161, v29, v209, v28                          // 000000008A28: D20100A1 0473A31D
	v_mov_b32_e32 v30, v164                                    // 000000008A30: 7E3C03A4
	v_mov_b32_e32 v31, v165                                    // 000000008A34: 7E3E03A5
	v_cmp_u_f32_e64 s[78:79], v30, v30                         // 000000008A38: D048004E 00023D1E
	v_bfe_u32 v208, v30, 16, 1                                 // 000000008A40: D1C800D0 0205211E
	v_add3_u32 v208, v30, v208, v211                           // 000000008A48: D1FF00D0 074FA11E
	v_cndmask_b32_e64 v28, v208, v210, s[78:79]                // 000000008A50: D100001C 013BA5D0
	v_lshrrev_b32_e32 v28, 16, v28                             // 000000008A58: 20383890
	v_cmp_u_f32_e64 s[78:79], v31, v31                         // 000000008A5C: D048004E 00023F1F
	v_bfe_u32 v208, v31, 16, 1                                 // 000000008A64: D1C800D0 0205211F
	v_add3_u32 v208, v31, v208, v211                           // 000000008A6C: D1FF00D0 074FA11F
	v_cndmask_b32_e64 v29, v208, v210, s[78:79]                // 000000008A74: D100001D 013BA5D0
	v_and_or_b32 v162, v29, v209, v28                          // 000000008A7C: D20100A2 0473A31D
	v_mov_b32_e32 v30, v166                                    // 000000008A84: 7E3C03A6
	v_mov_b32_e32 v31, v167                                    // 000000008A88: 7E3E03A7
	v_cmp_u_f32_e64 s[78:79], v30, v30                         // 000000008A8C: D048004E 00023D1E
	v_bfe_u32 v208, v30, 16, 1                                 // 000000008A94: D1C800D0 0205211E
	v_add3_u32 v208, v30, v208, v211                           // 000000008A9C: D1FF00D0 074FA11E
	v_cndmask_b32_e64 v28, v208, v210, s[78:79]                // 000000008AA4: D100001C 013BA5D0
	v_lshrrev_b32_e32 v28, 16, v28                             // 000000008AAC: 20383890
	v_cmp_u_f32_e64 s[78:79], v31, v31                         // 000000008AB0: D048004E 00023F1F
	v_bfe_u32 v208, v31, 16, 1                                 // 000000008AB8: D1C800D0 0205211F
	v_add3_u32 v208, v31, v208, v211                           // 000000008AC0: D1FF00D0 074FA11F
	v_cndmask_b32_e64 v29, v208, v210, s[78:79]                // 000000008AC8: D100001D 013BA5D0
	v_and_or_b32 v163, v29, v209, v28                          // 000000008AD0: D20100A3 0473A31D
	v_mov_b32_e32 v30, v168                                    // 000000008AD8: 7E3C03A8
	v_mov_b32_e32 v31, v169                                    // 000000008ADC: 7E3E03A9
	v_cmp_u_f32_e64 s[78:79], v30, v30                         // 000000008AE0: D048004E 00023D1E
	v_bfe_u32 v208, v30, 16, 1                                 // 000000008AE8: D1C800D0 0205211E
	v_add3_u32 v208, v30, v208, v211                           // 000000008AF0: D1FF00D0 074FA11E
	v_cndmask_b32_e64 v28, v208, v210, s[78:79]                // 000000008AF8: D100001C 013BA5D0
	v_lshrrev_b32_e32 v28, 16, v28                             // 000000008B00: 20383890
	v_cmp_u_f32_e64 s[78:79], v31, v31                         // 000000008B04: D048004E 00023F1F
	v_bfe_u32 v208, v31, 16, 1                                 // 000000008B0C: D1C800D0 0205211F
	v_add3_u32 v208, v31, v208, v211                           // 000000008B14: D1FF00D0 074FA11F
	v_cndmask_b32_e64 v29, v208, v210, s[78:79]                // 000000008B1C: D100001D 013BA5D0
	v_and_or_b32 v164, v29, v209, v28                          // 000000008B24: D20100A4 0473A31D
	v_mov_b32_e32 v30, v170                                    // 000000008B2C: 7E3C03AA
	v_mov_b32_e32 v31, v171                                    // 000000008B30: 7E3E03AB
	v_cmp_u_f32_e64 s[78:79], v30, v30                         // 000000008B34: D048004E 00023D1E
	v_bfe_u32 v208, v30, 16, 1                                 // 000000008B3C: D1C800D0 0205211E
	v_add3_u32 v208, v30, v208, v211                           // 000000008B44: D1FF00D0 074FA11E
	v_cndmask_b32_e64 v28, v208, v210, s[78:79]                // 000000008B4C: D100001C 013BA5D0
	v_lshrrev_b32_e32 v28, 16, v28                             // 000000008B54: 20383890
	v_cmp_u_f32_e64 s[78:79], v31, v31                         // 000000008B58: D048004E 00023F1F
	v_bfe_u32 v208, v31, 16, 1                                 // 000000008B60: D1C800D0 0205211F
	v_add3_u32 v208, v31, v208, v211                           // 000000008B68: D1FF00D0 074FA11F
	v_cndmask_b32_e64 v29, v208, v210, s[78:79]                // 000000008B70: D100001D 013BA5D0
	v_and_or_b32 v165, v29, v209, v28                          // 000000008B78: D20100A5 0473A31D
	v_mov_b32_e32 v30, v172                                    // 000000008B80: 7E3C03AC
	v_mov_b32_e32 v31, v173                                    // 000000008B84: 7E3E03AD
	v_cmp_u_f32_e64 s[78:79], v30, v30                         // 000000008B88: D048004E 00023D1E
	v_bfe_u32 v208, v30, 16, 1                                 // 000000008B90: D1C800D0 0205211E
	v_add3_u32 v208, v30, v208, v211                           // 000000008B98: D1FF00D0 074FA11E
	v_cndmask_b32_e64 v28, v208, v210, s[78:79]                // 000000008BA0: D100001C 013BA5D0
	v_lshrrev_b32_e32 v28, 16, v28                             // 000000008BA8: 20383890
	v_cmp_u_f32_e64 s[78:79], v31, v31                         // 000000008BAC: D048004E 00023F1F
	v_bfe_u32 v208, v31, 16, 1                                 // 000000008BB4: D1C800D0 0205211F
	v_add3_u32 v208, v31, v208, v211                           // 000000008BBC: D1FF00D0 074FA11F
	v_cndmask_b32_e64 v29, v208, v210, s[78:79]                // 000000008BC4: D100001D 013BA5D0
	v_and_or_b32 v166, v29, v209, v28                          // 000000008BCC: D20100A6 0473A31D
	v_mov_b32_e32 v30, v174                                    // 000000008BD4: 7E3C03AE
	v_mov_b32_e32 v31, v175                                    // 000000008BD8: 7E3E03AF
	v_cmp_u_f32_e64 s[78:79], v30, v30                         // 000000008BDC: D048004E 00023D1E
	v_bfe_u32 v208, v30, 16, 1                                 // 000000008BE4: D1C800D0 0205211E
	v_add3_u32 v208, v30, v208, v211                           // 000000008BEC: D1FF00D0 074FA11E
	v_cndmask_b32_e64 v28, v208, v210, s[78:79]                // 000000008BF4: D100001C 013BA5D0
	v_lshrrev_b32_e32 v28, 16, v28                             // 000000008BFC: 20383890
	v_cmp_u_f32_e64 s[78:79], v31, v31                         // 000000008C00: D048004E 00023F1F
	v_bfe_u32 v208, v31, 16, 1                                 // 000000008C08: D1C800D0 0205211F
	v_add3_u32 v208, v31, v208, v211                           // 000000008C10: D1FF00D0 074FA11F
	v_cndmask_b32_e64 v29, v208, v210, s[78:79]                // 000000008C18: D100001D 013BA5D0
	v_and_or_b32 v167, v29, v209, v28                          // 000000008C20: D20100A7 0473A31D
	v_mov_b32_e32 v30, v176                                    // 000000008C28: 7E3C03B0
	v_mov_b32_e32 v31, v177                                    // 000000008C2C: 7E3E03B1
	v_cmp_u_f32_e64 s[78:79], v30, v30                         // 000000008C30: D048004E 00023D1E
	v_bfe_u32 v208, v30, 16, 1                                 // 000000008C38: D1C800D0 0205211E
	v_add3_u32 v208, v30, v208, v211                           // 000000008C40: D1FF00D0 074FA11E
	v_cndmask_b32_e64 v28, v208, v210, s[78:79]                // 000000008C48: D100001C 013BA5D0
	v_lshrrev_b32_e32 v28, 16, v28                             // 000000008C50: 20383890
	v_cmp_u_f32_e64 s[78:79], v31, v31                         // 000000008C54: D048004E 00023F1F
	v_bfe_u32 v208, v31, 16, 1                                 // 000000008C5C: D1C800D0 0205211F
	v_add3_u32 v208, v31, v208, v211                           // 000000008C64: D1FF00D0 074FA11F
	v_cndmask_b32_e64 v29, v208, v210, s[78:79]                // 000000008C6C: D100001D 013BA5D0
	v_and_or_b32 v168, v29, v209, v28                          // 000000008C74: D20100A8 0473A31D
	v_mov_b32_e32 v30, v178                                    // 000000008C7C: 7E3C03B2
	v_mov_b32_e32 v31, v179                                    // 000000008C80: 7E3E03B3
	v_cmp_u_f32_e64 s[78:79], v30, v30                         // 000000008C84: D048004E 00023D1E
	v_bfe_u32 v208, v30, 16, 1                                 // 000000008C8C: D1C800D0 0205211E
	v_add3_u32 v208, v30, v208, v211                           // 000000008C94: D1FF00D0 074FA11E
	v_cndmask_b32_e64 v28, v208, v210, s[78:79]                // 000000008C9C: D100001C 013BA5D0
	v_lshrrev_b32_e32 v28, 16, v28                             // 000000008CA4: 20383890
	v_cmp_u_f32_e64 s[78:79], v31, v31                         // 000000008CA8: D048004E 00023F1F
	v_bfe_u32 v208, v31, 16, 1                                 // 000000008CB0: D1C800D0 0205211F
	v_add3_u32 v208, v31, v208, v211                           // 000000008CB8: D1FF00D0 074FA11F
	v_cndmask_b32_e64 v29, v208, v210, s[78:79]                // 000000008CC0: D100001D 013BA5D0
	v_and_or_b32 v169, v29, v209, v28                          // 000000008CC8: D20100A9 0473A31D
	v_mov_b32_e32 v30, v180                                    // 000000008CD0: 7E3C03B4
	v_mov_b32_e32 v31, v181                                    // 000000008CD4: 7E3E03B5
	v_cmp_u_f32_e64 s[78:79], v30, v30                         // 000000008CD8: D048004E 00023D1E
	v_bfe_u32 v208, v30, 16, 1                                 // 000000008CE0: D1C800D0 0205211E
	v_add3_u32 v208, v30, v208, v211                           // 000000008CE8: D1FF00D0 074FA11E
	v_cndmask_b32_e64 v28, v208, v210, s[78:79]                // 000000008CF0: D100001C 013BA5D0
	v_lshrrev_b32_e32 v28, 16, v28                             // 000000008CF8: 20383890
	v_cmp_u_f32_e64 s[78:79], v31, v31                         // 000000008CFC: D048004E 00023F1F
	v_bfe_u32 v208, v31, 16, 1                                 // 000000008D04: D1C800D0 0205211F
	v_add3_u32 v208, v31, v208, v211                           // 000000008D0C: D1FF00D0 074FA11F
	v_cndmask_b32_e64 v29, v208, v210, s[78:79]                // 000000008D14: D100001D 013BA5D0
	v_and_or_b32 v170, v29, v209, v28                          // 000000008D1C: D20100AA 0473A31D
	v_mov_b32_e32 v30, v182                                    // 000000008D24: 7E3C03B6
	v_mov_b32_e32 v31, v183                                    // 000000008D28: 7E3E03B7
	v_cmp_u_f32_e64 s[78:79], v30, v30                         // 000000008D2C: D048004E 00023D1E
	v_bfe_u32 v208, v30, 16, 1                                 // 000000008D34: D1C800D0 0205211E
	v_add3_u32 v208, v30, v208, v211                           // 000000008D3C: D1FF00D0 074FA11E
	v_cndmask_b32_e64 v28, v208, v210, s[78:79]                // 000000008D44: D100001C 013BA5D0
	v_lshrrev_b32_e32 v28, 16, v28                             // 000000008D4C: 20383890
	v_cmp_u_f32_e64 s[78:79], v31, v31                         // 000000008D50: D048004E 00023F1F
	v_bfe_u32 v208, v31, 16, 1                                 // 000000008D58: D1C800D0 0205211F
	v_add3_u32 v208, v31, v208, v211                           // 000000008D60: D1FF00D0 074FA11F
	v_cndmask_b32_e64 v29, v208, v210, s[78:79]                // 000000008D68: D100001D 013BA5D0
	v_and_or_b32 v171, v29, v209, v28                          // 000000008D70: D20100AB 0473A31D
	v_mov_b32_e32 v30, v184                                    // 000000008D78: 7E3C03B8
	v_mov_b32_e32 v31, v185                                    // 000000008D7C: 7E3E03B9
	v_cmp_u_f32_e64 s[78:79], v30, v30                         // 000000008D80: D048004E 00023D1E
	v_bfe_u32 v208, v30, 16, 1                                 // 000000008D88: D1C800D0 0205211E
	v_add3_u32 v208, v30, v208, v211                           // 000000008D90: D1FF00D0 074FA11E
	v_cndmask_b32_e64 v28, v208, v210, s[78:79]                // 000000008D98: D100001C 013BA5D0
	v_lshrrev_b32_e32 v28, 16, v28                             // 000000008DA0: 20383890
	v_cmp_u_f32_e64 s[78:79], v31, v31                         // 000000008DA4: D048004E 00023F1F
	v_bfe_u32 v208, v31, 16, 1                                 // 000000008DAC: D1C800D0 0205211F
	v_add3_u32 v208, v31, v208, v211                           // 000000008DB4: D1FF00D0 074FA11F
	v_cndmask_b32_e64 v29, v208, v210, s[78:79]                // 000000008DBC: D100001D 013BA5D0
	v_and_or_b32 v172, v29, v209, v28                          // 000000008DC4: D20100AC 0473A31D
	v_mov_b32_e32 v30, v186                                    // 000000008DCC: 7E3C03BA
	v_mov_b32_e32 v31, v187                                    // 000000008DD0: 7E3E03BB
	v_cmp_u_f32_e64 s[78:79], v30, v30                         // 000000008DD4: D048004E 00023D1E
	v_bfe_u32 v208, v30, 16, 1                                 // 000000008DDC: D1C800D0 0205211E
	v_add3_u32 v208, v30, v208, v211                           // 000000008DE4: D1FF00D0 074FA11E
	v_cndmask_b32_e64 v28, v208, v210, s[78:79]                // 000000008DEC: D100001C 013BA5D0
	v_lshrrev_b32_e32 v28, 16, v28                             // 000000008DF4: 20383890
	v_cmp_u_f32_e64 s[78:79], v31, v31                         // 000000008DF8: D048004E 00023F1F
	v_bfe_u32 v208, v31, 16, 1                                 // 000000008E00: D1C800D0 0205211F
	v_add3_u32 v208, v31, v208, v211                           // 000000008E08: D1FF00D0 074FA11F
	v_cndmask_b32_e64 v29, v208, v210, s[78:79]                // 000000008E10: D100001D 013BA5D0
	v_and_or_b32 v173, v29, v209, v28                          // 000000008E18: D20100AD 0473A31D
	v_mov_b32_e32 v30, v188                                    // 000000008E20: 7E3C03BC
	v_mov_b32_e32 v31, v189                                    // 000000008E24: 7E3E03BD
	v_cmp_u_f32_e64 s[78:79], v30, v30                         // 000000008E28: D048004E 00023D1E
	v_bfe_u32 v208, v30, 16, 1                                 // 000000008E30: D1C800D0 0205211E
	v_add3_u32 v208, v30, v208, v211                           // 000000008E38: D1FF00D0 074FA11E
	v_cndmask_b32_e64 v28, v208, v210, s[78:79]                // 000000008E40: D100001C 013BA5D0
	v_lshrrev_b32_e32 v28, 16, v28                             // 000000008E48: 20383890
	v_cmp_u_f32_e64 s[78:79], v31, v31                         // 000000008E4C: D048004E 00023F1F
	v_bfe_u32 v208, v31, 16, 1                                 // 000000008E54: D1C800D0 0205211F
	v_add3_u32 v208, v31, v208, v211                           // 000000008E5C: D1FF00D0 074FA11F
	v_cndmask_b32_e64 v29, v208, v210, s[78:79]                // 000000008E64: D100001D 013BA5D0
	v_and_or_b32 v174, v29, v209, v28                          // 000000008E6C: D20100AE 0473A31D
	v_mov_b32_e32 v30, v190                                    // 000000008E74: 7E3C03BE
	v_mov_b32_e32 v31, v191                                    // 000000008E78: 7E3E03BF
	v_cmp_u_f32_e64 s[78:79], v30, v30                         // 000000008E7C: D048004E 00023D1E
	v_bfe_u32 v208, v30, 16, 1                                 // 000000008E84: D1C800D0 0205211E
	v_add3_u32 v208, v30, v208, v211                           // 000000008E8C: D1FF00D0 074FA11E
	v_cndmask_b32_e64 v28, v208, v210, s[78:79]                // 000000008E94: D100001C 013BA5D0
	v_lshrrev_b32_e32 v28, 16, v28                             // 000000008E9C: 20383890
	v_cmp_u_f32_e64 s[78:79], v31, v31                         // 000000008EA0: D048004E 00023F1F
	v_bfe_u32 v208, v31, 16, 1                                 // 000000008EA8: D1C800D0 0205211F
	v_add3_u32 v208, v31, v208, v211                           // 000000008EB0: D1FF00D0 074FA11F
	v_cndmask_b32_e64 v29, v208, v210, s[78:79]                // 000000008EB8: D100001D 013BA5D0
	v_and_or_b32 v175, v29, v209, v28                          // 000000008EC0: D20100AF 0473A31D
	v_mov_b32_e32 v30, v192                                    // 000000008EC8: 7E3C03C0
	v_mov_b32_e32 v31, v193                                    // 000000008ECC: 7E3E03C1
	v_cmp_u_f32_e64 s[78:79], v30, v30                         // 000000008ED0: D048004E 00023D1E
	v_bfe_u32 v208, v30, 16, 1                                 // 000000008ED8: D1C800D0 0205211E
	v_add3_u32 v208, v30, v208, v211                           // 000000008EE0: D1FF00D0 074FA11E
	v_cndmask_b32_e64 v28, v208, v210, s[78:79]                // 000000008EE8: D100001C 013BA5D0
	v_lshrrev_b32_e32 v28, 16, v28                             // 000000008EF0: 20383890
	v_cmp_u_f32_e64 s[78:79], v31, v31                         // 000000008EF4: D048004E 00023F1F
	v_bfe_u32 v208, v31, 16, 1                                 // 000000008EFC: D1C800D0 0205211F
	v_add3_u32 v208, v31, v208, v211                           // 000000008F04: D1FF00D0 074FA11F
	v_cndmask_b32_e64 v29, v208, v210, s[78:79]                // 000000008F0C: D100001D 013BA5D0
	v_and_or_b32 v176, v29, v209, v28                          // 000000008F14: D20100B0 0473A31D
	v_mov_b32_e32 v30, v194                                    // 000000008F1C: 7E3C03C2
	v_mov_b32_e32 v31, v195                                    // 000000008F20: 7E3E03C3
	v_cmp_u_f32_e64 s[78:79], v30, v30                         // 000000008F24: D048004E 00023D1E
	v_bfe_u32 v208, v30, 16, 1                                 // 000000008F2C: D1C800D0 0205211E
	v_add3_u32 v208, v30, v208, v211                           // 000000008F34: D1FF00D0 074FA11E
	v_cndmask_b32_e64 v28, v208, v210, s[78:79]                // 000000008F3C: D100001C 013BA5D0
	v_lshrrev_b32_e32 v28, 16, v28                             // 000000008F44: 20383890
	v_cmp_u_f32_e64 s[78:79], v31, v31                         // 000000008F48: D048004E 00023F1F
	v_bfe_u32 v208, v31, 16, 1                                 // 000000008F50: D1C800D0 0205211F
	v_add3_u32 v208, v31, v208, v211                           // 000000008F58: D1FF00D0 074FA11F
	v_cndmask_b32_e64 v29, v208, v210, s[78:79]                // 000000008F60: D100001D 013BA5D0
	v_and_or_b32 v177, v29, v209, v28                          // 000000008F68: D20100B1 0473A31D
	v_mov_b32_e32 v30, v196                                    // 000000008F70: 7E3C03C4
	v_mov_b32_e32 v31, v197                                    // 000000008F74: 7E3E03C5
	v_cmp_u_f32_e64 s[78:79], v30, v30                         // 000000008F78: D048004E 00023D1E
	v_bfe_u32 v208, v30, 16, 1                                 // 000000008F80: D1C800D0 0205211E
	v_add3_u32 v208, v30, v208, v211                           // 000000008F88: D1FF00D0 074FA11E
	v_cndmask_b32_e64 v28, v208, v210, s[78:79]                // 000000008F90: D100001C 013BA5D0
	v_lshrrev_b32_e32 v28, 16, v28                             // 000000008F98: 20383890
	v_cmp_u_f32_e64 s[78:79], v31, v31                         // 000000008F9C: D048004E 00023F1F
	v_bfe_u32 v208, v31, 16, 1                                 // 000000008FA4: D1C800D0 0205211F
	v_add3_u32 v208, v31, v208, v211                           // 000000008FAC: D1FF00D0 074FA11F
	v_cndmask_b32_e64 v29, v208, v210, s[78:79]                // 000000008FB4: D100001D 013BA5D0
	v_and_or_b32 v178, v29, v209, v28                          // 000000008FBC: D20100B2 0473A31D
	v_mov_b32_e32 v30, v198                                    // 000000008FC4: 7E3C03C6
	v_mov_b32_e32 v31, v199                                    // 000000008FC8: 7E3E03C7
	v_cmp_u_f32_e64 s[78:79], v30, v30                         // 000000008FCC: D048004E 00023D1E
	v_bfe_u32 v208, v30, 16, 1                                 // 000000008FD4: D1C800D0 0205211E
	v_add3_u32 v208, v30, v208, v211                           // 000000008FDC: D1FF00D0 074FA11E
	v_cndmask_b32_e64 v28, v208, v210, s[78:79]                // 000000008FE4: D100001C 013BA5D0
	v_lshrrev_b32_e32 v28, 16, v28                             // 000000008FEC: 20383890
	v_cmp_u_f32_e64 s[78:79], v31, v31                         // 000000008FF0: D048004E 00023F1F
	v_bfe_u32 v208, v31, 16, 1                                 // 000000008FF8: D1C800D0 0205211F
	v_add3_u32 v208, v31, v208, v211                           // 000000009000: D1FF00D0 074FA11F
	v_cndmask_b32_e64 v29, v208, v210, s[78:79]                // 000000009008: D100001D 013BA5D0
	v_and_or_b32 v179, v29, v209, v28                          // 000000009010: D20100B3 0473A31D
	v_mov_b32_e32 v30, v200                                    // 000000009018: 7E3C03C8
	v_mov_b32_e32 v31, v201                                    // 00000000901C: 7E3E03C9
	v_cmp_u_f32_e64 s[78:79], v30, v30                         // 000000009020: D048004E 00023D1E
	v_bfe_u32 v208, v30, 16, 1                                 // 000000009028: D1C800D0 0205211E
	v_add3_u32 v208, v30, v208, v211                           // 000000009030: D1FF00D0 074FA11E
	v_cndmask_b32_e64 v28, v208, v210, s[78:79]                // 000000009038: D100001C 013BA5D0
	v_lshrrev_b32_e32 v28, 16, v28                             // 000000009040: 20383890
	v_cmp_u_f32_e64 s[78:79], v31, v31                         // 000000009044: D048004E 00023F1F
	v_bfe_u32 v208, v31, 16, 1                                 // 00000000904C: D1C800D0 0205211F
	v_add3_u32 v208, v31, v208, v211                           // 000000009054: D1FF00D0 074FA11F
	v_cndmask_b32_e64 v29, v208, v210, s[78:79]                // 00000000905C: D100001D 013BA5D0
	v_and_or_b32 v180, v29, v209, v28                          // 000000009064: D20100B4 0473A31D
	v_mov_b32_e32 v30, v202                                    // 00000000906C: 7E3C03CA
	v_mov_b32_e32 v31, v203                                    // 000000009070: 7E3E03CB
	v_cmp_u_f32_e64 s[78:79], v30, v30                         // 000000009074: D048004E 00023D1E
	v_bfe_u32 v208, v30, 16, 1                                 // 00000000907C: D1C800D0 0205211E
	v_add3_u32 v208, v30, v208, v211                           // 000000009084: D1FF00D0 074FA11E
	v_cndmask_b32_e64 v28, v208, v210, s[78:79]                // 00000000908C: D100001C 013BA5D0
	v_lshrrev_b32_e32 v28, 16, v28                             // 000000009094: 20383890
	v_cmp_u_f32_e64 s[78:79], v31, v31                         // 000000009098: D048004E 00023F1F
	v_bfe_u32 v208, v31, 16, 1                                 // 0000000090A0: D1C800D0 0205211F
	v_add3_u32 v208, v31, v208, v211                           // 0000000090A8: D1FF00D0 074FA11F
	v_cndmask_b32_e64 v29, v208, v210, s[78:79]                // 0000000090B0: D100001D 013BA5D0
	v_and_or_b32 v181, v29, v209, v28                          // 0000000090B8: D20100B5 0473A31D
	v_mov_b32_e32 v30, v204                                    // 0000000090C0: 7E3C03CC
	v_mov_b32_e32 v31, v205                                    // 0000000090C4: 7E3E03CD
	v_cmp_u_f32_e64 s[78:79], v30, v30                         // 0000000090C8: D048004E 00023D1E
	v_bfe_u32 v208, v30, 16, 1                                 // 0000000090D0: D1C800D0 0205211E
	v_add3_u32 v208, v30, v208, v211                           // 0000000090D8: D1FF00D0 074FA11E
	v_cndmask_b32_e64 v28, v208, v210, s[78:79]                // 0000000090E0: D100001C 013BA5D0
	v_lshrrev_b32_e32 v28, 16, v28                             // 0000000090E8: 20383890
	v_cmp_u_f32_e64 s[78:79], v31, v31                         // 0000000090EC: D048004E 00023F1F
	v_bfe_u32 v208, v31, 16, 1                                 // 0000000090F4: D1C800D0 0205211F
	v_add3_u32 v208, v31, v208, v211                           // 0000000090FC: D1FF00D0 074FA11F
	v_cndmask_b32_e64 v29, v208, v210, s[78:79]                // 000000009104: D100001D 013BA5D0
	v_and_or_b32 v182, v29, v209, v28                          // 00000000910C: D20100B6 0473A31D
	v_mov_b32_e32 v30, v206                                    // 000000009114: 7E3C03CE
	v_mov_b32_e32 v31, v207                                    // 000000009118: 7E3E03CF
	v_cmp_u_f32_e64 s[78:79], v30, v30                         // 00000000911C: D048004E 00023D1E
	v_bfe_u32 v208, v30, 16, 1                                 // 000000009124: D1C800D0 0205211E
	v_add3_u32 v208, v30, v208, v211                           // 00000000912C: D1FF00D0 074FA11E
	v_cndmask_b32_e64 v28, v208, v210, s[78:79]                // 000000009134: D100001C 013BA5D0
	v_lshrrev_b32_e32 v28, 16, v28                             // 00000000913C: 20383890
	v_cmp_u_f32_e64 s[78:79], v31, v31                         // 000000009140: D048004E 00023F1F
	v_bfe_u32 v208, v31, 16, 1                                 // 000000009148: D1C800D0 0205211F
	v_add3_u32 v208, v31, v208, v211                           // 000000009150: D1FF00D0 074FA11F
	v_cndmask_b32_e64 v29, v208, v210, s[78:79]                // 000000009158: D100001D 013BA5D0
	v_and_or_b32 v183, v29, v209, v28                          // 000000009160: D20100B7 0473A31D
	ds_write_b64 v25, v[160:161]                               // 000000009168: D89A0000 0000A019
	ds_write_b64 v25, v[162:163] offset:544                    // 000000009170: D89A0220 0000A219
	ds_write_b64 v25, v[164:165] offset:1088                   // 000000009178: D89A0440 0000A419
	ds_write_b64 v25, v[166:167] offset:1632                   // 000000009180: D89A0660 0000A619
	ds_write_b64 v25, v[168:169] offset:2176                   // 000000009188: D89A0880 0000A819
	ds_write_b64 v25, v[170:171] offset:2720                   // 000000009190: D89A0AA0 0000AA19
	ds_write_b64 v25, v[172:173] offset:3264                   // 000000009198: D89A0CC0 0000AC19
	ds_write_b64 v25, v[174:175] offset:3808                   // 0000000091A0: D89A0EE0 0000AE19
	ds_write_b64 v25, v[176:177] offset:4352                   // 0000000091A8: D89A1100 0000B019
	ds_write_b64 v25, v[178:179] offset:4896                   // 0000000091B0: D89A1320 0000B219
	ds_write_b64 v25, v[180:181] offset:5440                   // 0000000091B8: D89A1540 0000B419
	ds_write_b64 v25, v[182:183] offset:5984                   // 0000000091C0: D89A1760 0000B619
	s_waitcnt lgkmcnt(0)                                       // 0000000091C8: BF8CC07F
	s_barrier                                                  // 0000000091CC: BF8A0000
	ds_read_b64 v[160:161], v24                                // 0000000091D0: D8EC0000 A0000018
	ds_read_b64 v[162:163], v24 offset:128                     // 0000000091D8: D8EC0080 A2000018
	ds_read_b64 v[164:165], v24 offset:64                      // 0000000091E0: D8EC0040 A4000018
	ds_read_b64 v[166:167], v24 offset:192                     // 0000000091E8: D8EC00C0 A6000018
	ds_read_b64 v[168:169], v24 offset:2176                    // 0000000091F0: D8EC0880 A8000018
	ds_read_b64 v[170:171], v24 offset:2304                    // 0000000091F8: D8EC0900 AA000018
	ds_read_b64 v[172:173], v24 offset:2240                    // 000000009200: D8EC08C0 AC000018
	ds_read_b64 v[174:175], v24 offset:2368                    // 000000009208: D8EC0940 AE000018
	ds_read_b64 v[176:177], v24 offset:4352                    // 000000009210: D8EC1100 B0000018
	ds_read_b64 v[178:179], v24 offset:4480                    // 000000009218: D8EC1180 B2000018
	ds_read_b64 v[180:181], v24 offset:4416                    // 000000009220: D8EC1140 B4000018
	ds_read_b64 v[182:183], v24 offset:4544                    // 000000009228: D8EC11C0 B6000018
	s_waitcnt lgkmcnt(0)                                       // 000000009230: BF8CC07F
	buffer_store_dwordx4 v[160:163], v5, s[40:43], 0 idxen     // 000000009234: E07C2000 800AA005
	v_add_u32_e32 v5, 32, v5                                   // 00000000923C: 680A0AA0
	buffer_store_dwordx4 v[164:167], v6, s[40:43], 0 idxen     // 000000009240: E07C2000 800AA406
	v_add_u32_e32 v6, 32, v6                                   // 000000009248: 680C0CA0
	buffer_store_dwordx4 v[168:171], v5, s[40:43], 0 idxen     // 00000000924C: E07C2000 800AA805
	v_add_u32_e32 v5, 32, v5                                   // 000000009254: 680A0AA0
	buffer_store_dwordx4 v[172:175], v6, s[40:43], 0 idxen     // 000000009258: E07C2000 800AAC06
	v_add_u32_e32 v6, 32, v6                                   // 000000009260: 680C0CA0
	s_mov_b64 exec, s[82:83]                                   // 000000009264: BEFE0152
	buffer_store_dwordx4 v[176:179], v5, s[40:43], 0 idxen     // 000000009268: E07C2000 800AB005
	s_mov_b32 exec_lo, -1                                      // 000000009270: BEFE00C1
	s_mov_b32 exec_hi, -1                                      // 000000009274: BEFF00C1
	v_add_u32_e32 v5, 32, v5                                   // 000000009278: 680A0AA0
	s_mov_b64 exec, s[82:83]                                   // 00000000927C: BEFE0152
	buffer_store_dwordx4 v[180:183], v6, s[40:43], 0 idxen     // 000000009280: E07C2000 800AB406
	s_mov_b32 exec_lo, -1                                      // 000000009288: BEFE00C1
	s_mov_b32 exec_hi, -1                                      // 00000000928C: BEFF00C1
	v_add_u32_e32 v6, 32, v6                                   // 000000009290: 680C0CA0
	s_waitcnt vmcnt(0) expcnt(0) lgkmcnt(0)                    // 000000009294: BF8C0000
	s_sub_i32 s60, s77, 1                                      // 000000009298: 81BC814D
	s_sub_i32 s2, s60, s2                                      // 00000000929C: 8182023C
	s_addk_i32 s75, 0x1                                        // 0000000092A0: B74B0001
	s_cmp_lt_i32 s75, s76                                      // 0000000092A4: BF044C4B
	s_cbranch_scc1 label_0161                                  // 0000000092A8: BF85ECB6

00000000000092ac <label_14AB>:
	s_waitcnt vmcnt(0) expcnt(0) lgkmcnt(0)                    // 0000000092AC: BF8C0000
	s_endpgm                                                   // 0000000092B0: BF810000
